;; amdgpu-corpus repo=ROCm/rocFFT kind=compiled arch=gfx1030 opt=O3
	.text
	.amdgcn_target "amdgcn-amd-amdhsa--gfx1030"
	.amdhsa_code_object_version 6
	.protected	bluestein_single_back_len3375_dim1_sp_op_CI_CI ; -- Begin function bluestein_single_back_len3375_dim1_sp_op_CI_CI
	.globl	bluestein_single_back_len3375_dim1_sp_op_CI_CI
	.p2align	8
	.type	bluestein_single_back_len3375_dim1_sp_op_CI_CI,@function
bluestein_single_back_len3375_dim1_sp_op_CI_CI: ; @bluestein_single_back_len3375_dim1_sp_op_CI_CI
; %bb.0:
	s_load_dwordx4 s[12:15], s[4:5], 0x28
	v_mul_u32_u24_e32 v1, 0x124, v0
	v_mov_b32_e32 v151, 0
	s_mov_b32 s0, exec_lo
	v_lshrrev_b32_e32 v1, 16, v1
	v_add_nc_u32_e32 v150, s6, v1
	s_waitcnt lgkmcnt(0)
	v_cmpx_gt_u64_e64 s[12:13], v[150:151]
	s_cbranch_execz .LBB0_2
; %bb.1:
	s_clause 0x1
	s_load_dwordx4 s[0:3], s[4:5], 0x18
	s_load_dwordx4 s[8:11], s[4:5], 0x0
	v_mul_lo_u16 v1, 0xe1, v1
	v_mov_b32_e32 v91, 3
	v_sub_nc_u16 v90, v0, v1
	v_and_b32_e32 v158, 0xffff, v90
	v_lshlrev_b32_e32 v157, 3, v158
	v_add_co_u32 v92, null, 0x1c2, v158
	s_waitcnt lgkmcnt(0)
	s_load_dwordx4 s[16:19], s[0:1], 0x0
	s_clause 0x1
	global_load_dwordx2 v[120:121], v157, s[8:9]
	global_load_dwordx2 v[122:123], v157, s[8:9] offset:1800
	v_add_co_u32 v108, s0, s8, v157
	v_add_co_ci_u32_e64 v109, null, s9, 0, s0
	v_add_nc_u32_e32 v160, 0x1c00, v157
	v_add_co_u32 v4, vcc_lo, 0x1000, v108
	v_add_co_ci_u32_e32 v5, vcc_lo, 0, v109, vcc_lo
	v_add_co_u32 v6, vcc_lo, 0x2800, v108
	v_add_co_ci_u32_e32 v7, vcc_lo, 0, v109, vcc_lo
	v_add_co_u32 v16, vcc_lo, 0x3800, v108
	v_add_co_ci_u32_e32 v17, vcc_lo, 0, v109, vcc_lo
	s_waitcnt lgkmcnt(0)
	v_mad_u64_u32 v[0:1], null, s18, v150, 0
	v_mad_u64_u32 v[2:3], null, s16, v158, 0
	s_mul_i32 s0, s17, 0x1518
	s_mul_hi_u32 s1, s16, 0x1518
	s_mul_i32 s6, s16, 0x1518
	s_add_i32 s1, s1, s0
	s_mul_i32 s0, s17, 0xffffb2a8
	s_clause 0x1
	global_load_dwordx2 v[136:137], v[4:5], off offset:1304
	global_load_dwordx2 v[138:139], v[6:7], off offset:560
	v_mad_u64_u32 v[8:9], null, s19, v150, v[1:2]
	v_mad_u64_u32 v[9:10], null, s17, v158, v[3:4]
	v_add_co_u32 v10, vcc_lo, 0x5000, v108
	v_add_co_ci_u32_e32 v11, vcc_lo, 0, v109, vcc_lo
	v_mov_b32_e32 v1, v8
	v_add_co_u32 v12, vcc_lo, 0x1800, v108
	v_mov_b32_e32 v3, v9
	v_add_co_ci_u32_e32 v13, vcc_lo, 0, v109, vcc_lo
	v_lshlrev_b64 v[0:1], 3, v[0:1]
	v_add_co_u32 v8, vcc_lo, 0x3000, v108
	v_add_co_ci_u32_e32 v9, vcc_lo, 0, v109, vcc_lo
	v_lshlrev_b64 v[2:3], 3, v[2:3]
	v_add_co_u32 v0, vcc_lo, s14, v0
	v_add_co_ci_u32_e32 v1, vcc_lo, s15, v1, vcc_lo
	s_sub_i32 s0, s0, s16
	v_add_co_u32 v0, vcc_lo, v0, v2
	v_add_co_ci_u32_e32 v1, vcc_lo, v1, v3, vcc_lo
	global_load_dwordx2 v[140:141], v[16:17], off offset:1864
	v_add_co_u32 v14, vcc_lo, v0, s6
	v_add_co_ci_u32_e32 v15, vcc_lo, s1, v1, vcc_lo
	v_add_co_u32 v20, vcc_lo, 0x4000, v108
	v_add_co_ci_u32_e32 v21, vcc_lo, 0, v109, vcc_lo
	;; [unrolled: 2-line block ×8, first 2 shown]
	v_mad_u64_u32 v[36:37], null, 0xffffb2a8, s16, v[32:33]
	v_add_co_u32 v38, vcc_lo, 0x4800, v108
	v_add_co_ci_u32_e32 v39, vcc_lo, 0, v109, vcc_lo
	s_clause 0x1
	global_load_dwordx2 v[2:3], v[0:1], off
	global_load_dwordx2 v[22:23], v[14:15], off
	v_add_nc_u32_e32 v37, s0, v37
	v_add_co_u32 v0, vcc_lo, v36, s6
	s_clause 0x1
	global_load_dwordx2 v[28:29], v[18:19], off
	global_load_dwordx2 v[18:19], v[26:27], off
	v_add_co_ci_u32_e32 v1, vcc_lo, s1, v37, vcc_lo
	v_add_co_u32 v4, vcc_lo, v0, s6
	s_clause 0x1
	global_load_dwordx2 v[146:147], v[10:11], off offset:1120
	global_load_dwordx2 v[144:145], v[12:13], off offset:1056
	global_load_dwordx2 v[12:13], v[32:33], off
	v_add_co_ci_u32_e32 v5, vcc_lo, s1, v1, vcc_lo
	v_add_co_u32 v6, vcc_lo, v4, s6
	global_load_dwordx2 v[148:149], v[8:9], off offset:312
	global_load_dwordx2 v[26:27], v[36:37], off
	s_clause 0x3
	global_load_dwordx2 v[142:143], v[20:21], off offset:1616
	global_load_dwordx2 v[134:135], v[24:25], off offset:872
	;; [unrolled: 1-line block ×4, first 2 shown]
	global_load_dwordx2 v[20:21], v[0:1], off
	v_add_co_ci_u32_e32 v7, vcc_lo, s1, v5, vcc_lo
	v_add_co_u32 v40, vcc_lo, v6, s6
	global_load_dwordx2 v[10:11], v[4:5], off
	v_add_co_ci_u32_e32 v41, vcc_lo, s1, v7, vcc_lo
	global_load_dwordx2 v[14:15], v[6:7], off
	v_add_nc_u32_e32 v110, 0x3100, v157
	v_add_nc_u32_e32 v159, 0x4600, v157
	v_mad_u64_u32 v[32:33], null, 0xffffb2a8, s16, v[40:41]
	v_add_nc_u32_e32 v111, 0x5b00, v157
	v_add_nc_u32_e32 v163, 0xe00, v157
	;; [unrolled: 1-line block ×6, first 2 shown]
	v_add_co_u32 v0, vcc_lo, v32, s6
	v_add_co_u32 v93, s0, 0xe1, v158
	v_add_co_ci_u32_e32 v1, vcc_lo, s1, v33, vcc_lo
	v_add_co_u32 v8, vcc_lo, v0, s6
	v_add_co_ci_u32_e64 v68, null, 0, 0, s0
	v_add_co_ci_u32_e32 v9, vcc_lo, s1, v1, vcc_lo
	global_load_dwordx2 v[128:129], v[16:17], off offset:64
	global_load_dwordx2 v[24:25], v[40:41], off
	global_load_dwordx2 v[6:7], v[32:33], off
	;; [unrolled: 1-line block ×4, first 2 shown]
	v_add_co_u32 v8, vcc_lo, v8, s6
	v_add_co_ci_u32_e32 v9, vcc_lo, s1, v9, vcc_lo
	v_add_co_u32 v16, vcc_lo, 0x6000, v108
	v_add_co_ci_u32_e32 v17, vcc_lo, 0, v109, vcc_lo
	;; [unrolled: 2-line block ×3, first 2 shown]
	global_load_dwordx2 v[124:125], v[38:39], off offset:1368
	global_load_dwordx2 v[8:9], v[8:9], off
	global_load_dwordx2 v[126:127], v[16:17], off offset:624
	global_load_dwordx2 v[16:17], v[30:31], off
	v_and_b32_e32 v30, 0xff, v90
	v_mul_lo_u16 v33, v90, 5
	v_mov_b32_e32 v31, 0xcccd
	s_load_dwordx4 s[0:3], s[2:3], 0x0
	v_cmp_gt_u16_e32 vcc_lo, 0x7d, v90
	v_mul_lo_u16 v32, 0xcd, v30
	v_lshlrev_b32_sdwa v151, v91, v33 dst_sel:DWORD dst_unused:UNUSED_PAD src0_sel:DWORD src1_sel:WORD_0
	v_mul_u32_u24_sdwa v38, v92, v31 dst_sel:DWORD dst_unused:UNUSED_PAD src0_sel:WORD_0 src1_sel:DWORD
	v_lshrrev_b16 v37, 10, v32
	v_mul_u32_u24_sdwa v32, v93, v31 dst_sel:DWORD dst_unused:UNUSED_PAD src0_sel:WORD_0 src1_sel:DWORD
	v_mul_lo_u16 v33, v37, 5
	v_lshrrev_b32_e32 v39, 18, v32
	v_sub_nc_u16 v40, v90, v33
	s_waitcnt vmcnt(24)
	v_mul_f32_e32 v31, v3, v121
	v_mul_f32_e32 v32, v2, v121
	s_waitcnt vmcnt(23)
	v_mul_f32_e32 v33, v23, v137
	v_mul_f32_e32 v34, v22, v137
	v_fmac_f32_e32 v31, v2, v120
	s_waitcnt vmcnt(21)
	v_mul_f32_e32 v2, v19, v141
	v_fmac_f32_e32 v33, v22, v136
	v_mul_f32_e32 v22, v18, v141
	v_mul_f32_e32 v35, v29, v139
	;; [unrolled: 1-line block ×3, first 2 shown]
	v_fmac_f32_e32 v2, v18, v140
	s_waitcnt vmcnt(18)
	v_mul_f32_e32 v18, v13, v147
	v_fma_f32 v32, v3, v120, -v32
	v_fma_f32 v3, v19, v140, -v22
	v_mul_f32_e32 v19, v12, v147
	v_fma_f32 v34, v23, v136, -v34
	v_fmac_f32_e32 v18, v12, v146
	v_fmac_f32_e32 v35, v28, v138
	v_fma_f32 v36, v29, v138, -v36
	v_fma_f32 v19, v13, v146, -v19
	s_waitcnt vmcnt(10)
	v_mul_f32_e32 v12, v11, v149
	v_mul_f32_e32 v13, v10, v149
	ds_write_b64 v157, v[33:34] offset:5400
	ds_write_b64 v157, v[35:36] offset:10800
	;; [unrolled: 1-line block ×3, first 2 shown]
	v_mul_f32_e32 v2, v21, v145
	v_fmac_f32_e32 v12, v10, v148
	s_waitcnt vmcnt(9)
	v_mul_f32_e32 v10, v15, v143
	v_mul_f32_e32 v3, v20, v145
	;; [unrolled: 1-line block ×4, first 2 shown]
	ds_write_b64 v157, v[18:19] offset:21600
	v_mul_f32_e32 v19, v14, v143
	v_fmac_f32_e32 v10, v14, v142
	v_fmac_f32_e32 v2, v20, v144
	v_fma_f32 v3, v21, v144, -v3
	v_fmac_f32_e32 v22, v26, v122
	v_fma_f32 v23, v27, v122, -v23
	v_fma_f32 v13, v11, v148, -v13
	;; [unrolled: 1-line block ×3, first 2 shown]
	ds_write2_b64 v157, v[31:32], v[22:23] offset1:225
	v_lshrrev_b32_e32 v31, 18, v38
	v_and_b32_e32 v32, 0xff, v40
	s_waitcnt vmcnt(7)
	v_mul_f32_e32 v20, v24, v135
	s_waitcnt vmcnt(6)
	v_mul_f32_e32 v14, v7, v133
	;; [unrolled: 2-line block ×3, first 2 shown]
	v_mul_f32_e32 v15, v6, v133
	v_mul_f32_e32 v18, v25, v135
	v_fma_f32 v19, v25, v134, -v20
	v_fmac_f32_e32 v14, v6, v132
	s_waitcnt vmcnt(4)
	v_mul_f32_e32 v6, v1, v129
	v_mul_f32_e32 v20, v5, v131
	v_fma_f32 v21, v5, v130, -v21
	v_mul_f32_e32 v5, v0, v129
	v_fma_f32 v15, v7, v132, -v15
	v_fmac_f32_e32 v6, v0, v128
	v_fmac_f32_e32 v20, v4, v130
	s_waitcnt vmcnt(2)
	v_mul_f32_e32 v0, v9, v125
	v_mul_f32_e32 v22, v8, v125
	s_waitcnt vmcnt(0)
	v_mul_f32_e32 v4, v17, v127
	v_mul_f32_e32 v23, v16, v127
	v_fma_f32 v7, v1, v128, -v5
	v_fmac_f32_e32 v0, v8, v124
	v_fma_f32 v1, v9, v124, -v22
	v_fmac_f32_e32 v18, v24, v134
	v_fmac_f32_e32 v4, v16, v126
	v_fma_f32 v5, v17, v126, -v23
	ds_write_b64 v157, v[14:15] offset:3600
	ds_write2_b64 v160, v[2:3], v[20:21] offset0:4 offset1:229
	ds_write2_b64 v110, v[12:13], v[6:7] offset0:7 offset1:232
	;; [unrolled: 1-line block ×4, first 2 shown]
	v_mul_lo_u16 v20, v39, 5
	v_mul_u32_u24_e32 v21, 5, v93
	v_mul_u32_u24_e32 v22, 5, v92
	s_waitcnt lgkmcnt(0)
	s_barrier
	buffer_gl0_inv
	ds_read2_b64 v[0:3], v157 offset1:225
	ds_read2_b64 v[4:7], v163 offset0:2 offset1:227
	ds_read2_b64 v[8:11], v164 offset0:6 offset1:231
	;; [unrolled: 1-line block ×4, first 2 shown]
	v_sub_nc_u16 v33, v93, v20
	v_lshlrev_b32_e32 v153, 3, v21
	v_lshlrev_b32_e32 v152, 3, v22
	ds_read2_b64 v[20:23], v160 offset0:4 offset1:229
	ds_read2_b64 v[24:27], v159 offset0:10 offset1:235
	ds_read_b64 v[28:29], v157 offset:25200
	v_mul_lo_u16 v34, v31, 5
	s_waitcnt lgkmcnt(0)
	s_barrier
	buffer_gl0_inv
	v_lshlrev_b16 v36, 2, v33
	v_lshlrev_b32_e32 v35, 5, v32
	v_add_f32_e32 v38, v0, v6
	v_sub_f32_e32 v43, v6, v8
	v_add_f32_e32 v40, v8, v14
	v_add_f32_e32 v45, v6, v16
	v_sub_f32_e32 v46, v8, v6
	v_add_f32_e32 v49, v9, v15
	v_sub_f32_e32 v50, v6, v16
	v_add_f32_e32 v6, v2, v20
	v_add_f32_e32 v48, v1, v7
	;; [unrolled: 1-line block ×3, first 2 shown]
	v_sub_f32_e32 v52, v7, v9
	v_add_f32_e32 v54, v10, v24
	v_sub_f32_e32 v55, v21, v19
	v_sub_f32_e32 v57, v20, v10
	v_add_f32_e32 v58, v20, v18
	v_sub_f32_e32 v59, v10, v20
	v_add_f32_e32 v60, v3, v21
	v_add_f32_e32 v61, v11, v25
	v_sub_f32_e32 v62, v20, v18
	v_sub_f32_e32 v20, v21, v11
	v_add_f32_e32 v64, v21, v19
	v_sub_f32_e32 v21, v11, v21
	v_add_f32_e32 v65, v4, v22
	v_sub_f32_e32 v74, v17, v15
	v_sub_f32_e32 v80, v25, v19
	;; [unrolled: 1-line block ×5, first 2 shown]
	v_add_f32_e32 v69, v22, v28
	v_sub_f32_e32 v70, v12, v22
	v_add_f32_e32 v71, v5, v23
	v_sub_f32_e32 v72, v22, v28
	v_sub_f32_e32 v22, v23, v13
	;; [unrolled: 1-line block ×6, first 2 shown]
	v_add_f32_e32 v73, v23, v29
	v_add_f32_e32 v81, v12, v26
	;; [unrolled: 1-line block ×4, first 2 shown]
	v_fma_f32 v6, -0.5, v40, v0
	v_fma_f32 v7, -0.5, v49, v1
	v_sub_f32_e32 v42, v9, v15
	v_sub_f32_e32 v51, v8, v14
	v_add_f32_e32 v38, v38, v8
	v_add_f32_e32 v48, v48, v9
	v_fma_f32 v0, -0.5, v45, v0
	v_fma_f32 v1, -0.5, v75, v1
	v_sub_f32_e32 v79, v19, v25
	v_add_f32_e32 v40, v52, v74
	v_fma_f32 v8, -0.5, v54, v2
	v_fma_f32 v9, -0.5, v61, v3
	v_add_f32_e32 v52, v21, v80
	v_add_f32_e32 v21, v65, v12
	v_sub_f32_e32 v56, v11, v25
	v_sub_f32_e32 v63, v10, v24
	;; [unrolled: 1-line block ×5, first 2 shown]
	v_add_f32_e32 v43, v43, v44
	v_add_f32_e32 v44, v46, v47
	;; [unrolled: 1-line block ×3, first 2 shown]
	v_fma_f32 v2, -0.5, v58, v2
	v_fmac_f32_e32 v3, -0.5, v64
	v_add_f32_e32 v57, v22, v87
	v_add_f32_e32 v22, v71, v13
	v_sub_f32_e32 v78, v24, v18
	v_sub_f32_e32 v82, v13, v27
	;; [unrolled: 1-line block ×3, first 2 shown]
	v_add_f32_e32 v60, v60, v11
	v_fma_f32 v10, -0.5, v81, v4
	v_fma_f32 v11, -0.5, v85, v5
	;; [unrolled: 1-line block ×3, first 2 shown]
	v_fmac_f32_e32 v5, -0.5, v73
	v_fmamk_f32 v12, v41, 0x3f737871, v6
	v_fmamk_f32 v13, v50, 0xbf737871, v7
	v_sub_f32_e32 v76, v15, v17
	v_add_f32_e32 v38, v38, v14
	v_add_f32_e32 v48, v48, v15
	v_fmamk_f32 v14, v42, 0xbf737871, v0
	v_fmac_f32_e32 v0, 0x3f737871, v42
	v_fmamk_f32 v15, v51, 0x3f737871, v1
	v_fmac_f32_e32 v1, 0xbf737871, v51
	v_fmac_f32_e32 v6, 0xbf737871, v41
	;; [unrolled: 1-line block ×3, first 2 shown]
	v_add_f32_e32 v49, v20, v79
	v_fmamk_f32 v20, v55, 0x3f737871, v8
	v_add_f32_e32 v61, v21, v26
	v_fmamk_f32 v21, v62, 0xbf737871, v9
	v_add_f32_e32 v58, v23, v88
	v_add_f32_e32 v64, v22, v27
	v_fmamk_f32 v22, v56, 0xbf737871, v2
	v_fmac_f32_e32 v2, 0x3f737871, v56
	v_fmamk_f32 v23, v63, 0x3f737871, v3
	v_fmac_f32_e32 v3, 0xbf737871, v63
	v_sub_f32_e32 v83, v28, v26
	v_sub_f32_e32 v84, v26, v28
	v_add_f32_e32 v47, v59, v78
	v_add_f32_e32 v59, v89, v24
	v_fmac_f32_e32 v8, 0xbf737871, v55
	v_add_f32_e32 v60, v60, v25
	v_fmac_f32_e32 v9, 0x3f737871, v62
	v_fmamk_f32 v24, v66, 0x3f737871, v10
	v_fmac_f32_e32 v10, 0xbf737871, v66
	v_fmamk_f32 v26, v82, 0xbf737871, v4
	;; [unrolled: 2-line block ×4, first 2 shown]
	v_fmac_f32_e32 v5, 0xbf737871, v86
	v_fmac_f32_e32 v12, 0x3f167918, v42
	;; [unrolled: 1-line block ×3, first 2 shown]
	v_add_f32_e32 v45, v53, v76
	v_fmac_f32_e32 v14, 0x3f167918, v41
	v_fmac_f32_e32 v0, 0xbf167918, v41
	;; [unrolled: 1-line block ×12, first 2 shown]
	v_add_f32_e32 v53, v67, v83
	v_add_f32_e32 v54, v70, v84
	;; [unrolled: 1-line block ×4, first 2 shown]
	v_fmac_f32_e32 v8, 0xbf167918, v56
	v_fmac_f32_e32 v9, 0x3f167918, v63
	;; [unrolled: 1-line block ×18, first 2 shown]
	v_add_f32_e32 v18, v59, v18
	v_add_f32_e32 v19, v60, v19
	v_fmac_f32_e32 v20, 0x3e9e377a, v46
	v_fmac_f32_e32 v21, 0x3e9e377a, v49
	;; [unrolled: 1-line block ×6, first 2 shown]
	v_add_f32_e32 v28, v61, v28
	v_add_f32_e32 v29, v64, v29
	v_fmac_f32_e32 v8, 0x3e9e377a, v46
	v_fmac_f32_e32 v9, 0x3e9e377a, v49
	v_fmac_f32_e32 v24, 0x3e9e377a, v53
	v_fmac_f32_e32 v10, 0x3e9e377a, v53
	v_fmac_f32_e32 v26, 0x3e9e377a, v54
	v_fmac_f32_e32 v4, 0x3e9e377a, v54
	v_fmac_f32_e32 v25, 0x3e9e377a, v57
	v_fmac_f32_e32 v11, 0x3e9e377a, v57
	v_fmac_f32_e32 v27, 0x3e9e377a, v58
	v_fmac_f32_e32 v5, 0x3e9e377a, v58
	ds_write2_b64 v151, v[16:17], v[12:13] offset1:1
	ds_write2_b64 v151, v[14:15], v[0:1] offset0:2 offset1:3
	ds_write_b64 v151, v[6:7] offset:32
	ds_write2_b64 v153, v[18:19], v[20:21] offset1:1
	ds_write2_b64 v153, v[22:23], v[2:3] offset0:2 offset1:3
	ds_write_b64 v153, v[8:9] offset:32
	ds_write2_b64 v152, v[28:29], v[24:25] offset1:1
	ds_write_b64 v152, v[10:11] offset:32
	ds_write2_b64 v152, v[26:27], v[4:5] offset0:2 offset1:3
	v_sub_nc_u16 v0, v92, v34
	v_lshlrev_b32_sdwa v1, v91, v36 dst_sel:DWORD dst_unused:UNUSED_PAD src0_sel:DWORD src1_sel:WORD_0
	s_waitcnt lgkmcnt(0)
	s_barrier
	buffer_gl0_inv
	v_lshlrev_b16 v2, 2, v0
	s_clause 0x2
	global_load_dwordx4 v[44:47], v35, s[10:11]
	global_load_dwordx4 v[48:51], v1, s[10:11]
	global_load_dwordx4 v[52:55], v35, s[10:11] offset:16
	v_mul_lo_u16 v3, v30, 41
	v_lshlrev_b32_sdwa v2, v91, v2 dst_sel:DWORD dst_unused:UNUSED_PAD src0_sel:DWORD src1_sel:WORD_0
	s_clause 0x2
	global_load_dwordx4 v[60:63], v1, s[10:11] offset:16
	global_load_dwordx4 v[56:59], v2, s[10:11]
	global_load_dwordx4 v[64:67], v2, s[10:11] offset:16
	v_mov_b32_e32 v1, 0x47af
	v_lshrrev_b16 v69, 10, v3
	v_mad_u16 v12, v31, 25, v0
	ds_read2_b64 v[20:23], v159 offset0:10 offset1:235
	v_mul_u32_u24_sdwa v2, v93, v1 dst_sel:DWORD dst_unused:UNUSED_PAD src0_sel:WORD_0 src1_sel:DWORD
	v_mul_u32_u24_sdwa v1, v92, v1 dst_sel:DWORD dst_unused:UNUSED_PAD src0_sel:WORD_0 src1_sel:DWORD
	v_mul_lo_u16 v5, v69, 25
	v_lshlrev_b32_sdwa v170, v91, v12 dst_sel:DWORD dst_unused:UNUSED_PAD src0_sel:DWORD src1_sel:WORD_0
	ds_read2_b64 v[12:15], v161 offset0:12 offset1:237
	v_lshrrev_b32_e32 v2, 16, v2
	v_lshrrev_b32_e32 v1, 16, v1
	v_sub_nc_u16 v5, v90, v5
	v_sub_nc_u16 v4, v93, v2
	v_and_b32_e32 v73, 0xff, v5
	v_lshrrev_b16 v3, 1, v4
	v_sub_nc_u16 v4, v92, v1
	v_lshlrev_b32_e32 v30, 5, v73
	v_add_nc_u16 v2, v3, v2
	v_mov_b32_e32 v3, 25
	v_lshrrev_b16 v4, 1, v4
	v_lshrrev_b16 v77, 4, v2
	v_mul_u32_u24_sdwa v2, v37, v3 dst_sel:DWORD dst_unused:UNUSED_PAD src0_sel:WORD_0 src1_sel:DWORD
	v_add_nc_u16 v1, v4, v1
	ds_read2_b64 v[4:7], v164 offset0:6 offset1:231
	v_mul_lo_u16 v3, v77, 25
	v_add_lshl_u32 v168, v2, v32, 3
	v_lshrrev_b16 v78, 4, v1
	v_mad_u16 v1, v39, 25, v33
	v_sub_nc_u16 v79, v93, v3
	v_mul_lo_u16 v8, v78, 25
	v_lshlrev_b32_sdwa v169, v91, v1 dst_sel:DWORD dst_unused:UNUSED_PAD src0_sel:DWORD src1_sel:WORD_0
	ds_read2_b64 v[0:3], v163 offset0:2 offset1:227
	v_lshlrev_b16 v16, 5, v79
	v_sub_nc_u16 v80, v92, v8
	ds_read2_b64 v[8:11], v162 offset0:8 offset1:233
	v_and_b32_e32 v24, 0xffff, v16
	ds_read2_b64 v[16:19], v160 offset0:4 offset1:229
	v_lshlrev_b16 v31, 5, v80
	v_add_co_u32 v32, s6, s10, v24
	ds_read2_b64 v[24:27], v157 offset1:225
	ds_read_b64 v[28:29], v157 offset:25200
	s_waitcnt vmcnt(0) lgkmcnt(0)
	s_barrier
	buffer_gl0_inv
	v_add_co_ci_u32_e64 v33, null, s11, 0, s6
	v_mul_f32_e32 v34, v3, v45
	v_mul_f32_e32 v35, v2, v45
	;; [unrolled: 1-line block ×24, first 2 shown]
	v_fma_f32 v4, v4, v46, -v36
	v_fmac_f32_e32 v37, v5, v46
	v_fma_f32 v5, v6, v50, -v43
	v_fmac_f32_e32 v70, v7, v50
	;; [unrolled: 2-line block ×3, first 2 shown]
	v_fma_f32 v40, v14, v62, -v74
	v_fma_f32 v6, v16, v48, -v42
	v_fmac_f32_e32 v71, v17, v48
	v_fma_f32 v7, v18, v56, -v81
	v_fma_f32 v2, v2, v44, -v34
	v_fmac_f32_e32 v35, v3, v44
	v_fma_f32 v10, v10, v52, -v38
	v_fmac_f32_e32 v39, v11, v52
	;; [unrolled: 2-line block ×3, first 2 shown]
	v_fmac_f32_e32 v75, v15, v62
	v_fma_f32 v3, v8, v58, -v83
	v_fma_f32 v12, v22, v64, -v85
	;; [unrolled: 1-line block ×3, first 2 shown]
	v_fmac_f32_e32 v82, v19, v56
	v_fmac_f32_e32 v84, v9, v58
	;; [unrolled: 1-line block ×4, first 2 shown]
	v_add_f32_e32 v8, v24, v2
	v_add_f32_e32 v9, v4, v10
	v_sub_f32_e32 v34, v35, v41
	v_add_f32_e32 v13, v25, v35
	v_sub_f32_e32 v14, v2, v4
	v_add_f32_e32 v16, v2, v36
	v_sub_f32_e32 v17, v4, v2
	v_add_f32_e32 v19, v37, v39
	v_sub_f32_e32 v43, v2, v36
	v_sub_f32_e32 v20, v35, v37
	v_sub_f32_e32 v21, v37, v35
	v_add_f32_e32 v22, v35, v41
	v_add_f32_e32 v2, v26, v6
	;; [unrolled: 1-line block ×3, first 2 shown]
	v_sub_f32_e32 v74, v6, v5
	v_sub_f32_e32 v81, v5, v6
	v_add_f32_e32 v89, v6, v40
	v_sub_f32_e32 v94, v6, v40
	v_add_f32_e32 v6, v0, v7
	v_add_f32_e32 v72, v5, v11
	;; [unrolled: 1-line block ×3, first 2 shown]
	v_sub_f32_e32 v97, v71, v70
	v_sub_f32_e32 v98, v70, v71
	;; [unrolled: 1-line block ×3, first 2 shown]
	v_add_f32_e32 v71, v71, v75
	v_add_f32_e32 v103, v3, v12
	;; [unrolled: 1-line block ×3, first 2 shown]
	v_sub_f32_e32 v38, v37, v39
	v_sub_f32_e32 v95, v70, v76
	v_add_f32_e32 v102, v1, v82
	v_sub_f32_e32 v104, v7, v3
	v_sub_f32_e32 v105, v3, v7
	;; [unrolled: 1-line block ×3, first 2 shown]
	v_add_f32_e32 v116, v84, v86
	v_sub_f32_e32 v117, v82, v84
	v_sub_f32_e32 v118, v84, v82
	;; [unrolled: 1-line block ×3, first 2 shown]
	v_add_f32_e32 v82, v82, v88
	v_add_f32_e32 v156, v8, v4
	v_add_f32_e32 v13, v13, v37
	v_add_f32_e32 v37, v2, v5
	v_add_f32_e32 v35, v35, v70
	v_add_f32_e32 v70, v6, v3
	v_fma_f32 v2, -0.5, v9, v24
	v_fma_f32 v3, -0.5, v19, v25
	v_sub_f32_e32 v42, v4, v10
	v_sub_f32_e32 v23, v41, v39
	v_sub_f32_e32 v29, v39, v41
	v_sub_f32_e32 v83, v5, v11
	v_fma_f32 v4, -0.5, v16, v24
	v_fma_f32 v5, -0.5, v22, v25
	v_sub_f32_e32 v15, v36, v10
	v_sub_f32_e32 v114, v7, v28
	v_fma_f32 v6, -0.5, v72, v26
	v_fma_f32 v7, -0.5, v96, v27
	v_sub_f32_e32 v18, v10, v36
	v_sub_f32_e32 v115, v84, v86
	v_fma_f32 v26, -0.5, v89, v26
	v_fmac_f32_e32 v27, -0.5, v71
	v_fma_f32 v8, -0.5, v103, v0
	v_fma_f32 v0, -0.5, v113, v0
	v_sub_f32_e32 v85, v40, v11
	v_sub_f32_e32 v87, v11, v40
	v_fma_f32 v9, -0.5, v116, v1
	v_fmac_f32_e32 v1, -0.5, v82
	v_add_f32_e32 v22, v156, v10
	v_add_f32_e32 v24, v37, v11
	v_fmamk_f32 v10, v34, 0x3f737871, v2
	v_fmamk_f32 v11, v43, 0xbf737871, v3
	v_sub_f32_e32 v107, v28, v12
	v_sub_f32_e32 v112, v12, v28
	v_add_f32_e32 v166, v20, v23
	v_add_f32_e32 v167, v21, v29
	;; [unrolled: 1-line block ×4, first 2 shown]
	v_fmamk_f32 v12, v38, 0xbf737871, v4
	v_fmac_f32_e32 v4, 0x3f737871, v38
	v_fmamk_f32 v13, v42, 0x3f737871, v5
	v_fmac_f32_e32 v5, 0xbf737871, v42
	v_fmac_f32_e32 v2, 0xbf737871, v34
	;; [unrolled: 1-line block ×3, first 2 shown]
	v_sub_f32_e32 v100, v75, v76
	v_add_f32_e32 v84, v102, v84
	v_add_f32_e32 v102, v14, v15
	v_fmamk_f32 v14, v99, 0x3f737871, v6
	v_fmamk_f32 v15, v94, 0xbf737871, v7
	v_sub_f32_e32 v101, v76, v75
	v_add_f32_e32 v165, v17, v18
	v_fmamk_f32 v16, v95, 0xbf737871, v26
	v_fmac_f32_e32 v26, 0x3f737871, v95
	v_fmamk_f32 v17, v83, 0x3f737871, v27
	v_fmac_f32_e32 v27, 0xbf737871, v83
	;; [unrolled: 2-line block ×3, first 2 shown]
	v_sub_f32_e32 v154, v88, v86
	v_sub_f32_e32 v155, v86, v88
	v_fmac_f32_e32 v6, 0xbf737871, v99
	v_fmac_f32_e32 v7, 0x3f737871, v94
	v_fmamk_f32 v18, v119, 0x3f737871, v8
	v_fmac_f32_e32 v8, 0xbf737871, v119
	v_fmamk_f32 v19, v114, 0xbf737871, v9
	;; [unrolled: 2-line block ×3, first 2 shown]
	v_fmac_f32_e32 v1, 0xbf737871, v106
	v_fmac_f32_e32 v10, 0x3f167918, v38
	;; [unrolled: 1-line block ×9, first 2 shown]
	v_add_f32_e32 v74, v74, v85
	v_add_f32_e32 v72, v81, v87
	;; [unrolled: 1-line block ×4, first 2 shown]
	v_fmac_f32_e32 v14, 0x3f167918, v95
	v_fmac_f32_e32 v15, 0xbf167918, v83
	v_add_f32_e32 v71, v98, v101
	v_add_f32_e32 v87, v105, v112
	v_fmac_f32_e32 v16, 0x3f167918, v99
	v_fmac_f32_e32 v26, 0xbf167918, v99
	;; [unrolled: 1-line block ×5, first 2 shown]
	v_add_f32_e32 v85, v104, v107
	v_add_f32_e32 v89, v117, v154
	;; [unrolled: 1-line block ×6, first 2 shown]
	v_fmac_f32_e32 v6, 0xbf167918, v95
	v_fmac_f32_e32 v7, 0x3f167918, v83
	;; [unrolled: 1-line block ×17, first 2 shown]
	v_add_f32_e32 v24, v24, v40
	v_add_f32_e32 v25, v25, v75
	v_fmac_f32_e32 v14, 0x3e9e377a, v74
	v_fmac_f32_e32 v15, 0x3e9e377a, v81
	;; [unrolled: 1-line block ×7, first 2 shown]
	v_add_f32_e32 v28, v29, v28
	v_add_f32_e32 v29, v35, v88
	v_fmac_f32_e32 v6, 0x3e9e377a, v74
	v_fmac_f32_e32 v7, 0x3e9e377a, v81
	;; [unrolled: 1-line block ×9, first 2 shown]
	ds_write2_b64 v168, v[22:23], v[10:11] offset1:5
	ds_write2_b64 v168, v[12:13], v[4:5] offset0:10 offset1:15
	ds_write_b64 v168, v[2:3] offset:160
	ds_write2_b64 v169, v[24:25], v[14:15] offset1:5
	ds_write2_b64 v169, v[16:17], v[26:27] offset0:10 offset1:15
	ds_write_b64 v169, v[6:7] offset:160
	;; [unrolled: 3-line block ×3, first 2 shown]
	v_and_b32_e32 v0, 0xffff, v31
	s_waitcnt lgkmcnt(0)
	s_barrier
	buffer_gl0_inv
	s_clause 0x1
	global_load_dwordx4 v[20:23], v30, s[10:11] offset:160
	global_load_dwordx4 v[24:27], v[32:33], off offset:160
	v_add_co_u32 v0, s6, s10, v0
	v_add_co_ci_u32_e64 v1, null, s11, 0, s6
	s_clause 0x3
	global_load_dwordx4 v[28:31], v30, s[10:11] offset:176
	global_load_dwordx4 v[36:39], v[32:33], off offset:176
	global_load_dwordx4 v[32:35], v[0:1], off offset:160
	;; [unrolled: 1-line block ×3, first 2 shown]
	v_mov_b32_e32 v0, 0x625
	v_add_co_u32 v95, null, 0x2a3, v158
	v_add_co_u32 v94, null, 0x384, v158
	v_mul_u32_u24_sdwa v2, v93, v0 dst_sel:DWORD dst_unused:UNUSED_PAD src0_sel:WORD_0 src1_sel:DWORD
	v_mul_u32_u24_sdwa v3, v92, v0 dst_sel:DWORD dst_unused:UNUSED_PAD src0_sel:WORD_0 src1_sel:DWORD
	;; [unrolled: 1-line block ×4, first 2 shown]
	v_add_co_u32 v5, s6, 0xffffff83, v158
	v_lshrrev_b32_e32 v2, 16, v2
	v_lshrrev_b32_e32 v3, 16, v3
	;; [unrolled: 1-line block ×4, first 2 shown]
	v_cndmask_b32_e32 v85, v5, v158, vcc_lo
	v_sub_nc_u16 v5, v93, v2
	v_add_co_ci_u32_e64 v6, null, 0, -1, s6
	v_sub_nc_u16 v7, v92, v3
	v_sub_nc_u16 v8, v95, v4
	;; [unrolled: 1-line block ×3, first 2 shown]
	v_lshrrev_b16 v5, 1, v5
	v_mov_b32_e32 v1, 0x7d
	v_cndmask_b32_e64 v86, v6, 0, vcc_lo
	v_lshrrev_b16 v6, 1, v7
	v_lshrrev_b16 v7, 1, v8
	;; [unrolled: 1-line block ×3, first 2 shown]
	v_add_nc_u16 v2, v5, v2
	v_mul_u32_u24_sdwa v9, v69, v1 dst_sel:DWORD dst_unused:UNUSED_PAD src0_sel:WORD_0 src1_sel:DWORD
	v_add_nc_u16 v3, v6, v3
	v_add_nc_u16 v4, v7, v4
	;; [unrolled: 1-line block ×3, first 2 shown]
	v_lshlrev_b64 v[0:1], 4, v[85:86]
	v_lshrrev_b16 v69, 6, v2
	v_lshrrev_b16 v70, 6, v3
	;; [unrolled: 1-line block ×4, first 2 shown]
	v_add_lshl_u32 v165, v9, v73, 3
	v_add_co_u32 v86, vcc_lo, s10, v0
	v_mul_lo_u16 v0, 0x7d, v69
	v_add_co_ci_u32_e32 v87, vcc_lo, s11, v1, vcc_lo
	v_mul_lo_u16 v1, 0x7d, v70
	v_mul_lo_u16 v2, 0x7d, v71
	;; [unrolled: 1-line block ×3, first 2 shown]
	v_sub_nc_u16 v73, v93, v0
	v_mad_u16 v0, 0x7d, v77, v79
	v_sub_nc_u16 v74, v92, v1
	v_sub_nc_u16 v75, v95, v2
	;; [unrolled: 1-line block ×3, first 2 shown]
	v_lshlrev_b16 v2, 4, v73
	v_mad_u16 v1, 0x7d, v78, v80
	v_lshlrev_b16 v3, 4, v74
	v_lshlrev_b16 v4, 4, v75
	;; [unrolled: 1-line block ×3, first 2 shown]
	v_and_b32_e32 v12, 0xffff, v2
	v_lshlrev_b32_sdwa v167, v91, v0 dst_sel:DWORD dst_unused:UNUSED_PAD src0_sel:DWORD src1_sel:WORD_0
	v_and_b32_e32 v81, 0xffff, v3
	v_lshlrev_b32_sdwa v166, v91, v1 dst_sel:DWORD dst_unused:UNUSED_PAD src0_sel:DWORD src1_sel:WORD_0
	v_and_b32_e32 v100, 0xffff, v4
	ds_read2_b64 v[0:3], v163 offset0:2 offset1:227
	ds_read2_b64 v[4:7], v164 offset0:6 offset1:231
	v_and_b32_e32 v101, 0xffff, v8
	ds_read2_b64 v[8:11], v161 offset0:12 offset1:237
	v_add_co_u32 v88, s6, s10, v12
	ds_read2_b64 v[12:15], v162 offset0:8 offset1:233
	ds_read2_b64 v[16:19], v159 offset0:10 offset1:235
	;; [unrolled: 1-line block ×3, first 2 shown]
	v_add_co_ci_u32_e64 v89, null, s11, 0, s6
	v_add_co_u32 v96, s6, s10, v81
	ds_read2_b64 v[81:84], v157 offset1:225
	ds_read_b64 v[98:99], v157 offset:25200
	v_add_co_ci_u32_e64 v97, null, s11, 0, s6
	s_waitcnt vmcnt(0) lgkmcnt(0)
	s_barrier
	buffer_gl0_inv
	v_cmp_lt_u16_e32 vcc_lo, 0x7c, v90
	v_lshlrev_b32_e32 v92, 4, v92
	v_mul_f32_e32 v102, v3, v21
	v_mul_f32_e32 v103, v5, v23
	;; [unrolled: 1-line block ×24, first 2 shown]
	v_fma_f32 v103, v4, v22, -v103
	v_fmac_f32_e32 v104, v5, v22
	v_fma_f32 v107, v8, v30, -v107
	v_fmac_f32_e32 v112, v9, v30
	v_fma_f32 v113, v10, v38, -v113
	v_fma_f32 v2, v2, v20, -v102
	;; [unrolled: 1-line block ×3, first 2 shown]
	v_fmac_f32_e32 v116, v15, v28
	v_fmac_f32_e32 v117, v3, v20
	v_fma_f32 v3, v77, v24, -v119
	v_fma_f32 v4, v79, v32, -v156
	;; [unrolled: 1-line block ×3, first 2 shown]
	v_fmac_f32_e32 v106, v7, v26
	v_fmac_f32_e32 v114, v11, v38
	v_fma_f32 v11, v16, v36, -v118
	v_fmac_f32_e32 v154, v17, v36
	v_fmac_f32_e32 v155, v78, v24
	v_fma_f32 v12, v12, v34, -v172
	v_fmac_f32_e32 v173, v13, v34
	v_fma_f32 v13, v18, v40, -v174
	v_fma_f32 v98, v98, v42, -v176
	v_fmac_f32_e32 v171, v80, v32
	v_fmac_f32_e32 v175, v19, v40
	;; [unrolled: 1-line block ×3, first 2 shown]
	v_add_f32_e32 v7, v103, v10
	v_add_f32_e32 v8, v104, v116
	v_sub_f32_e32 v9, v117, v104
	v_sub_f32_e32 v14, v112, v116
	v_add_f32_e32 v15, v81, v2
	v_sub_f32_e32 v16, v103, v2
	v_sub_f32_e32 v17, v10, v107
	;; [unrolled: 3-line block ×3, first 2 shown]
	v_add_f32_e32 v18, v2, v107
	v_add_f32_e32 v77, v117, v112
	;; [unrolled: 1-line block ×11, first 2 shown]
	v_sub_f32_e32 v19, v104, v117
	v_sub_f32_e32 v102, v105, v3
	;; [unrolled: 1-line block ×3, first 2 shown]
	v_add_f32_e32 v184, v173, v175
	v_add_f32_e32 v192, v171, v177
	;; [unrolled: 1-line block ×3, first 2 shown]
	v_sub_f32_e32 v117, v117, v112
	v_sub_f32_e32 v197, v2, v107
	;; [unrolled: 1-line block ×3, first 2 shown]
	v_fma_f32 v2, -0.5, v7, v81
	v_fma_f32 v3, -0.5, v8, v82
	v_add_f32_e32 v206, v9, v14
	v_add_f32_e32 v207, v16, v17
	;; [unrolled: 1-line block ×4, first 2 shown]
	v_sub_f32_e32 v182, v4, v12
	v_sub_f32_e32 v188, v12, v4
	;; [unrolled: 1-line block ×6, first 2 shown]
	v_add_f32_e32 v205, v5, v6
	v_fma_f32 v4, -0.5, v18, v81
	v_fma_f32 v5, -0.5, v77, v82
	v_add_f32_e32 v12, v187, v12
	v_sub_f32_e32 v199, v106, v154
	v_sub_f32_e32 v200, v105, v11
	v_fma_f32 v6, -0.5, v79, v83
	v_fma_f32 v83, -0.5, v80, v83
	;; [unrolled: 1-line block ×3, first 2 shown]
	v_fmac_f32_e32 v84, -0.5, v119
	v_add_f32_e32 v15, v196, v104
	v_sub_f32_e32 v172, v106, v155
	v_sub_f32_e32 v178, v155, v106
	v_sub_f32_e32 v155, v155, v114
	v_sub_f32_e32 v203, v173, v175
	v_fma_f32 v8, -0.5, v181, v0
	v_fma_f32 v0, -0.5, v189, v0
	v_add_f32_e32 v16, v156, v106
	v_sub_f32_e32 v78, v116, v112
	v_sub_f32_e32 v115, v11, v113
	;; [unrolled: 1-line block ×6, first 2 shown]
	v_fma_f32 v9, -0.5, v184, v1
	v_fmac_f32_e32 v1, -0.5, v192
	v_add_f32_e32 v18, v194, v173
	v_add_f32_e32 v79, v14, v10
	;; [unrolled: 1-line block ×3, first 2 shown]
	v_fmamk_f32 v10, v117, 0x3f737871, v2
	v_fmamk_f32 v11, v197, 0xbf737871, v3
	v_sub_f32_e32 v183, v98, v13
	v_sub_f32_e32 v190, v13, v98
	v_add_f32_e32 v99, v12, v13
	v_fmamk_f32 v12, v198, 0xbf737871, v4
	v_fmac_f32_e32 v4, 0x3f737871, v198
	v_fmamk_f32 v13, v195, 0x3f737871, v5
	v_fmac_f32_e32 v5, 0xbf737871, v195
	v_fmac_f32_e32 v2, 0xbf737871, v117
	;; [unrolled: 1-line block ×3, first 2 shown]
	v_sub_f32_e32 v174, v154, v114
	v_add_f32_e32 v80, v15, v116
	v_fmamk_f32 v14, v199, 0xbf737871, v83
	v_fmac_f32_e32 v83, 0x3f737871, v199
	v_fmamk_f32 v15, v200, 0x3f737871, v84
	v_fmac_f32_e32 v84, 0xbf737871, v200
	v_sub_f32_e32 v180, v114, v154
	v_add_f32_e32 v82, v16, v154
	v_fmamk_f32 v16, v155, 0x3f737871, v6
	v_fmamk_f32 v17, v201, 0xbf737871, v7
	;; [unrolled: 1-line block ×3, first 2 shown]
	v_fmac_f32_e32 v0, 0x3f737871, v203
	v_sub_f32_e32 v186, v177, v175
	v_sub_f32_e32 v193, v175, v177
	v_add_f32_e32 v208, v19, v78
	v_add_f32_e32 v103, v18, v175
	v_fmac_f32_e32 v6, 0xbf737871, v155
	v_fmac_f32_e32 v7, 0x3f737871, v201
	v_fmamk_f32 v18, v171, 0x3f737871, v8
	v_fmamk_f32 v19, v202, 0xbf737871, v9
	v_fmac_f32_e32 v8, 0xbf737871, v171
	v_fmac_f32_e32 v9, 0x3f737871, v202
	v_fmamk_f32 v78, v204, 0x3f737871, v1
	v_fmac_f32_e32 v1, 0xbf737871, v204
	v_fmac_f32_e32 v10, 0x3f167918, v198
	;; [unrolled: 1-line block ×9, first 2 shown]
	v_add_f32_e32 v102, v102, v115
	v_add_f32_e32 v115, v172, v174
	v_fmac_f32_e32 v14, 0x3f167918, v155
	v_fmac_f32_e32 v83, 0xbf167918, v155
	v_fmac_f32_e32 v15, 0xbf167918, v201
	v_fmac_f32_e32 v84, 0x3f167918, v201
	v_add_f32_e32 v118, v176, v179
	v_add_f32_e32 v119, v178, v180
	;; [unrolled: 1-line block ×3, first 2 shown]
	v_fmac_f32_e32 v16, 0x3f167918, v199
	v_fmac_f32_e32 v17, 0xbf167918, v200
	;; [unrolled: 1-line block ×3, first 2 shown]
	v_add_f32_e32 v172, v182, v183
	v_add_f32_e32 v174, v185, v186
	;; [unrolled: 1-line block ×5, first 2 shown]
	v_fmac_f32_e32 v6, 0xbf167918, v199
	v_fmac_f32_e32 v7, 0x3f167918, v200
	v_fmac_f32_e32 v18, 0x3f167918, v203
	v_fmac_f32_e32 v19, 0xbf167918, v204
	v_fmac_f32_e32 v8, 0xbf167918, v203
	v_fmac_f32_e32 v77, 0x3f167918, v171
	v_fmac_f32_e32 v9, 0x3f167918, v204
	v_fmac_f32_e32 v78, 0xbf167918, v202
	v_fmac_f32_e32 v1, 0x3f167918, v202
	v_fmac_f32_e32 v10, 0x3e9e377a, v205
	v_fmac_f32_e32 v11, 0x3e9e377a, v206
	v_fmac_f32_e32 v12, 0x3e9e377a, v207
	v_fmac_f32_e32 v4, 0x3e9e377a, v207
	v_fmac_f32_e32 v13, 0x3e9e377a, v208
	v_fmac_f32_e32 v5, 0x3e9e377a, v208
	v_fmac_f32_e32 v2, 0x3e9e377a, v205
	v_fmac_f32_e32 v3, 0x3e9e377a, v206
	v_fmac_f32_e32 v14, 0x3e9e377a, v102
	v_fmac_f32_e32 v83, 0x3e9e377a, v102
	v_fmac_f32_e32 v15, 0x3e9e377a, v115
	v_fmac_f32_e32 v84, 0x3e9e377a, v115
	v_add_f32_e32 v81, v81, v113
	v_add_f32_e32 v82, v82, v114
	v_fmac_f32_e32 v16, 0x3e9e377a, v118
	v_fmac_f32_e32 v17, 0x3e9e377a, v119
	;; [unrolled: 1-line block ×3, first 2 shown]
	v_add_f32_e32 v98, v99, v98
	v_add_f32_e32 v99, v103, v177
	v_fmac_f32_e32 v6, 0x3e9e377a, v118
	v_fmac_f32_e32 v7, 0x3e9e377a, v119
	;; [unrolled: 1-line block ×9, first 2 shown]
	ds_write2_b64 v165, v[79:80], v[10:11] offset1:25
	ds_write2_b64 v165, v[12:13], v[4:5] offset0:50 offset1:75
	ds_write_b64 v165, v[2:3] offset:800
	ds_write2_b64 v167, v[14:15], v[83:84] offset0:50 offset1:75
	ds_write2_b64 v167, v[81:82], v[16:17] offset1:25
	ds_write_b64 v167, v[6:7] offset:800
	ds_write2_b64 v166, v[98:99], v[18:19] offset1:25
	ds_write2_b64 v166, v[77:78], v[0:1] offset0:50 offset1:75
	ds_write_b64 v166, v[8:9] offset:800
	v_add_co_u32 v0, s6, s10, v100
	v_add_co_ci_u32_e64 v1, null, s11, 0, s6
	v_add_co_u32 v2, s6, s10, v101
	s_waitcnt lgkmcnt(0)
	s_barrier
	buffer_gl0_inv
	s_clause 0x1
	global_load_dwordx4 v[16:19], v[86:87], off offset:960
	global_load_dwordx4 v[12:15], v[88:89], off offset:960
	v_add_co_ci_u32_e64 v3, null, s11, 0, s6
	s_clause 0x2
	global_load_dwordx4 v[8:11], v[96:97], off offset:960
	global_load_dwordx4 v[4:7], v[0:1], off offset:960
	;; [unrolled: 1-line block ×3, first 2 shown]
	v_mov_b32_e32 v77, 0x5d87
	v_add_co_u32 v80, s6, 0xffffff6a, v158
	v_cndmask_b32_e64 v78, 0, 0x177, vcc_lo
	v_add_co_ci_u32_e64 v81, null, 0, -1, s6
	v_mul_u32_u24_sdwa v79, v95, v77 dst_sel:DWORD dst_unused:UNUSED_PAD src0_sel:WORD_0 src1_sel:DWORD
	v_mul_u32_u24_sdwa v77, v94, v77 dst_sel:DWORD dst_unused:UNUSED_PAD src0_sel:WORD_0 src1_sel:DWORD
	v_cmp_gt_u16_e32 vcc_lo, 0x96, v90
	v_add_lshl_u32 v171, v85, v78, 3
	v_lshrrev_b32_e32 v79, 16, v79
	v_lshrrev_b32_e32 v82, 16, v77
	v_cndmask_b32_e32 v89, v81, v68, vcc_lo
	v_cndmask_b32_e32 v88, v80, v93, vcc_lo
	v_lshlrev_b32_e32 v77, 4, v158
	v_sub_nc_u16 v68, v95, v79
	v_sub_nc_u16 v80, v94, v82
	v_lshlrev_b32_e32 v93, 4, v93
	v_add_co_u32 v96, s6, s10, v77
	v_lshrrev_b16 v68, 1, v68
	v_lshrrev_b16 v80, 1, v80
	v_lshlrev_b64 v[77:78], 4, v[88:89]
	v_add_co_ci_u32_e64 v97, null, s11, 0, s6
	v_add_nc_u16 v68, v68, v79
	v_add_nc_u16 v79, v80, v82
	v_add_co_u32 v112, vcc_lo, 0x800, v96
	v_add_co_ci_u32_e32 v113, vcc_lo, 0, v97, vcc_lo
	v_lshrrev_b16 v89, 8, v68
	v_lshrrev_b16 v68, 8, v79
	v_add_co_u32 v114, vcc_lo, 0x1000, v96
	v_add_co_ci_u32_e32 v115, vcc_lo, 0, v97, vcc_lo
	v_mul_lo_u16 v79, 0x177, v89
	v_mul_lo_u16 v68, 0x177, v68
	v_add_co_u32 v77, vcc_lo, s10, v77
	v_add_co_ci_u32_e32 v78, vcc_lo, s11, v78, vcc_lo
	v_sub_nc_u16 v99, v95, v79
	v_sub_nc_u16 v98, v94, v68
	v_mad_u16 v68, 0x177, v69, v73
	v_mad_u16 v69, 0x177, v70, v74
	v_mad_u16 v70, 0x177, v71, v75
	v_mad_u16 v71, 0x177, v72, v76
	v_lshlrev_b16 v72, 4, v99
	v_lshlrev_b16 v73, 4, v98
	v_lshlrev_b32_sdwa v175, v91, v68 dst_sel:DWORD dst_unused:UNUSED_PAD src0_sel:DWORD src1_sel:WORD_0
	v_lshlrev_b32_sdwa v174, v91, v69 dst_sel:DWORD dst_unused:UNUSED_PAD src0_sel:DWORD src1_sel:WORD_0
	;; [unrolled: 1-line block ×3, first 2 shown]
	v_and_b32_e32 v76, 0xffff, v72
	v_and_b32_e32 v80, 0xffff, v73
	v_lshlrev_b32_sdwa v172, v91, v71 dst_sel:DWORD dst_unused:UNUSED_PAD src0_sel:DWORD src1_sel:WORD_0
	ds_read2_b64 v[68:71], v159 offset0:10 offset1:235
	v_add_co_u32 v116, vcc_lo, 0x800, v77
	v_add_co_u32 v154, s6, s10, v76
	ds_read2_b64 v[72:75], v164 offset0:6 offset1:231
	v_add_co_ci_u32_e32 v117, vcc_lo, 0, v78, vcc_lo
	v_add_co_ci_u32_e64 v155, null, s11, 0, s6
	ds_read2_b64 v[76:79], v161 offset0:12 offset1:237
	v_add_co_u32 v156, s6, s10, v80
	ds_read2_b64 v[80:83], v162 offset0:8 offset1:233
	ds_read2_b64 v[84:87], v160 offset0:4 offset1:229
	ds_read2_b64 v[100:103], v157 offset1:225
	ds_read_b64 v[118:119], v157 offset:25200
	ds_read2_b64 v[104:107], v163 offset0:2 offset1:227
	v_add_co_ci_u32_e64 v176, null, s11, 0, s6
	s_waitcnt vmcnt(0) lgkmcnt(0)
	s_barrier
	buffer_gl0_inv
	v_lshlrev_b32_e32 v95, 4, v95
	v_mul_f32_e32 v177, v69, v19
	v_mul_f32_e32 v178, v68, v19
	;; [unrolled: 1-line block ×20, first 2 shown]
	v_fma_f32 v177, v68, v18, -v177
	v_fmac_f32_e32 v178, v69, v18
	v_fmac_f32_e32 v180, v71, v14
	;; [unrolled: 1-line block ×3, first 2 shown]
	v_fma_f32 v71, v86, v16, -v193
	v_fma_f32 v179, v70, v14, -v179
	;; [unrolled: 1-line block ×3, first 2 shown]
	v_fmac_f32_e32 v182, v73, v12
	v_fma_f32 v69, v74, v8, -v183
	v_fmac_f32_e32 v184, v75, v8
	v_fma_f32 v74, v76, v10, -v185
	;; [unrolled: 2-line block ×6, first 2 shown]
	v_fmac_f32_e32 v196, v119, v2
	v_add_f32_e32 v75, v71, v177
	v_add_f32_e32 v77, v194, v178
	;; [unrolled: 1-line block ×9, first 2 shown]
	v_sub_f32_e32 v86, v194, v178
	v_sub_f32_e32 v87, v71, v177
	;; [unrolled: 1-line block ×3, first 2 shown]
	v_add_f32_e32 v82, v102, v68
	v_sub_f32_e32 v119, v68, v179
	v_add_f32_e32 v181, v105, v184
	v_sub_f32_e32 v182, v184, v186
	v_add_f32_e32 v184, v104, v69
	v_add_f32_e32 v187, v107, v190
	v_sub_f32_e32 v191, v69, v74
	v_sub_f32_e32 v193, v190, v188
	v_add_f32_e32 v190, v190, v188
	v_add_f32_e32 v194, v70, v76
	v_add_f32_e32 v197, v85, v192
	v_sub_f32_e32 v198, v192, v196
	v_add_f32_e32 v192, v192, v196
	v_add_f32_e32 v200, v72, v80
	v_fma_f32 v68, -0.5, v75, v100
	v_fma_f32 v69, -0.5, v77, v101
	v_fma_f32 v102, -0.5, v83, v102
	v_fmac_f32_e32 v103, -0.5, v81
	v_add_f32_e32 v189, v106, v70
	v_sub_f32_e32 v195, v70, v76
	v_add_f32_e32 v71, v73, v178
	v_add_f32_e32 v70, v78, v177
	;; [unrolled: 1-line block ×3, first 2 shown]
	v_fma_f32 v78, -0.5, v185, v104
	v_fma_f32 v79, -0.5, v183, v105
	v_add_f32_e32 v199, v84, v72
	v_sub_f32_e32 v201, v72, v80
	v_add_f32_e32 v72, v82, v179
	v_fma_f32 v106, -0.5, v194, v106
	v_fmac_f32_e32 v107, -0.5, v190
	v_fma_f32 v84, -0.5, v200, v84
	v_fmac_f32_e32 v85, -0.5, v192
	v_fmamk_f32 v82, v86, 0x3f5db3d7, v68
	v_fmamk_f32 v83, v87, 0xbf5db3d7, v69
	v_fmac_f32_e32 v68, 0xbf5db3d7, v86
	v_fmac_f32_e32 v69, 0x3f5db3d7, v87
	v_fmamk_f32 v86, v118, 0x3f5db3d7, v102
	v_fmamk_f32 v87, v119, 0xbf5db3d7, v103
	v_fmac_f32_e32 v102, 0xbf5db3d7, v118
	v_fmac_f32_e32 v103, 0x3f5db3d7, v119
	v_add_f32_e32 v75, v181, v186
	v_add_f32_e32 v74, v184, v74
	v_fmamk_f32 v100, v182, 0x3f5db3d7, v78
	v_fmamk_f32 v101, v191, 0xbf5db3d7, v79
	v_add_f32_e32 v77, v187, v188
	v_add_f32_e32 v76, v189, v76
	v_add_f32_e32 v81, v197, v196
	v_add_f32_e32 v80, v199, v80
	v_fmac_f32_e32 v78, 0xbf5db3d7, v182
	v_fmac_f32_e32 v79, 0x3f5db3d7, v191
	v_fmamk_f32 v104, v193, 0x3f5db3d7, v106
	v_fmamk_f32 v105, v195, 0xbf5db3d7, v107
	v_fmac_f32_e32 v106, 0xbf5db3d7, v193
	v_fmac_f32_e32 v107, 0x3f5db3d7, v195
	v_fmamk_f32 v118, v198, 0x3f5db3d7, v84
	v_fmamk_f32 v119, v201, 0xbf5db3d7, v85
	v_fmac_f32_e32 v84, 0xbf5db3d7, v198
	v_fmac_f32_e32 v85, 0x3f5db3d7, v201
	ds_write2_b64 v171, v[70:71], v[82:83] offset1:125
	ds_write_b64 v171, v[68:69] offset:2000
	ds_write2_b64 v175, v[72:73], v[86:87] offset1:125
	ds_write_b64 v175, v[102:103] offset:2000
	;; [unrolled: 2-line block ×5, first 2 shown]
	v_add_co_u32 v72, vcc_lo, 0x800, v154
	v_add_co_ci_u32_e32 v73, vcc_lo, 0, v155, vcc_lo
	v_add_co_u32 v84, vcc_lo, 0x800, v156
	v_add_co_ci_u32_e32 v85, vcc_lo, 0, v176, vcc_lo
	s_waitcnt lgkmcnt(0)
	s_barrier
	buffer_gl0_inv
	s_clause 0x4
	global_load_dwordx4 v[80:83], v[112:113], off offset:912
	global_load_dwordx4 v[76:79], v[116:117], off offset:912
	;; [unrolled: 1-line block ×5, first 2 shown]
	v_cmp_lt_u16_e32 vcc_lo, 0x95, v90
	v_lshlrev_b32_e32 v156, 4, v94
	v_lshlrev_b32_sdwa v178, v91, v98 dst_sel:DWORD dst_unused:UNUSED_PAD src0_sel:DWORD src1_sel:WORD_0
	v_cndmask_b32_e64 v90, 0, 0x465, vcc_lo
	v_add_co_u32 v96, vcc_lo, 0x2000, v96
	v_add_co_ci_u32_e32 v97, vcc_lo, 0, v97, vcc_lo
	v_add_lshl_u32 v177, v88, v90, 3
	v_add_co_u32 v88, s6, s10, v93
	v_add_co_ci_u32_e64 v90, null, s11, 0, s6
	v_add_co_u32 v107, s6, s10, v92
	v_add_co_ci_u32_e64 v112, null, s11, 0, s6
	v_add_co_u32 v154, vcc_lo, 0x2000, v88
	v_mad_u16 v88, 0x465, v89, v99
	v_add_co_u32 v176, s6, s10, v95
	ds_read2_b64 v[92:95], v159 offset0:10 offset1:235
	v_add_co_ci_u32_e32 v155, vcc_lo, 0, v90, vcc_lo
	v_add_co_u32 v184, vcc_lo, 0x2000, v107
	ds_read2_b64 v[99:102], v164 offset0:6 offset1:231
	ds_read2_b64 v[103:106], v161 offset0:12 offset1:237
	v_add_co_ci_u32_e32 v185, vcc_lo, 0, v112, vcc_lo
	v_lshlrev_b32_sdwa v179, v91, v88 dst_sel:DWORD dst_unused:UNUSED_PAD src0_sel:DWORD src1_sel:WORD_0
	ds_read2_b64 v[88:91], v162 offset0:8 offset1:233
	ds_read2_b64 v[112:115], v160 offset0:4 offset1:229
	ds_read2_b64 v[116:119], v157 offset1:225
	ds_read_b64 v[186:187], v157 offset:25200
	ds_read2_b64 v[180:183], v163 offset0:2 offset1:227
	s_waitcnt vmcnt(0) lgkmcnt(0)
	s_barrier
	buffer_gl0_inv
	v_add_co_ci_u32_e64 v188, null, s11, 0, s6
	v_mul_f32_e32 v98, v93, v83
	v_mul_f32_e32 v107, v92, v83
	;; [unrolled: 1-line block ×20, first 2 shown]
	v_fma_f32 v92, v92, v82, -v98
	v_fmac_f32_e32 v107, v93, v82
	v_fmac_f32_e32 v200, v89, v72
	v_fma_f32 v89, v90, v84, -v201
	v_fma_f32 v90, v114, v80, -v203
	v_fmac_f32_e32 v204, v115, v80
	v_fma_f32 v93, v94, v78, -v189
	v_fmac_f32_e32 v190, v95, v78
	;; [unrolled: 2-line block ×8, first 2 shown]
	v_add_f32_e32 v91, v116, v90
	v_add_f32_e32 v99, v117, v204
	;; [unrolled: 1-line block ×6, first 2 shown]
	v_sub_f32_e32 v104, v204, v107
	v_sub_f32_e32 v105, v90, v92
	v_add_f32_e32 v114, v118, v94
	v_add_f32_e32 v186, v119, v192
	v_sub_f32_e32 v187, v192, v190
	v_sub_f32_e32 v189, v94, v93
	v_add_f32_e32 v94, v181, v194
	v_add_f32_e32 v191, v180, v95
	v_sub_f32_e32 v192, v194, v196
	v_add_f32_e32 v193, v194, v196
	v_add_f32_e32 v194, v95, v98
	;; [unrolled: 1-line block ×5, first 2 shown]
	v_sub_f32_e32 v204, v88, v100
	v_add_f32_e32 v207, v202, v206
	v_add_f32_e32 v208, v112, v89
	;; [unrolled: 1-line block ×3, first 2 shown]
	v_sub_f32_e32 v210, v89, v102
	v_add_f32_e32 v88, v91, v92
	v_add_f32_e32 v89, v99, v107
	v_fma_f32 v90, -0.5, v103, v116
	v_fma_f32 v91, -0.5, v101, v117
	;; [unrolled: 1-line block ×3, first 2 shown]
	v_fmac_f32_e32 v119, -0.5, v115
	v_sub_f32_e32 v195, v95, v98
	v_add_f32_e32 v197, v183, v200
	v_sub_f32_e32 v200, v200, v198
	v_add_f32_e32 v205, v113, v202
	;; [unrolled: 2-line block ×3, first 2 shown]
	v_add_f32_e32 v94, v191, v98
	v_add_f32_e32 v98, v201, v100
	;; [unrolled: 1-line block ×3, first 2 shown]
	v_fma_f32 v102, -0.5, v194, v180
	v_fma_f32 v103, -0.5, v193, v181
	;; [unrolled: 1-line block ×3, first 2 shown]
	v_fmac_f32_e32 v183, -0.5, v199
	v_fma_f32 v112, -0.5, v209, v112
	v_fmac_f32_e32 v113, -0.5, v207
	ds_write_b64 v157, v[88:89]
	v_fmamk_f32 v88, v104, 0x3f5db3d7, v90
	v_fmamk_f32 v89, v105, 0xbf5db3d7, v91
	v_fmac_f32_e32 v90, 0xbf5db3d7, v104
	v_fmac_f32_e32 v91, 0x3f5db3d7, v105
	v_fmamk_f32 v104, v187, 0x3f5db3d7, v118
	v_fmac_f32_e32 v118, 0xbf5db3d7, v187
	v_fmamk_f32 v105, v189, 0xbf5db3d7, v119
	v_fmac_f32_e32 v119, 0x3f5db3d7, v189
	v_add_f32_e32 v92, v114, v93
	v_add_f32_e32 v93, v186, v190
	;; [unrolled: 1-line block ×4, first 2 shown]
	v_fmamk_f32 v106, v192, 0x3f5db3d7, v102
	v_fmac_f32_e32 v102, 0xbf5db3d7, v192
	v_fmamk_f32 v107, v195, 0xbf5db3d7, v103
	v_fmac_f32_e32 v103, 0x3f5db3d7, v195
	v_fmamk_f32 v114, v200, 0x3f5db3d7, v182
	v_fmac_f32_e32 v182, 0xbf5db3d7, v200
	v_fmamk_f32 v115, v204, 0xbf5db3d7, v183
	v_fmac_f32_e32 v183, 0x3f5db3d7, v204
	v_fmamk_f32 v116, v202, 0x3f5db3d7, v112
	v_fmac_f32_e32 v112, 0xbf5db3d7, v202
	v_fmamk_f32 v117, v210, 0xbf5db3d7, v113
	v_fmac_f32_e32 v113, 0x3f5db3d7, v210
	ds_write_b64 v157, v[88:89] offset:3000
	ds_write_b64 v157, v[90:91] offset:6000
	;; [unrolled: 1-line block ×3, first 2 shown]
	ds_write_b64 v177, v[92:93]
	ds_write_b64 v177, v[104:105] offset:3000
	ds_write_b64 v157, v[94:95] offset:9600
	;; [unrolled: 1-line block ×5, first 2 shown]
	ds_write_b64 v179, v[98:99]
	ds_write_b64 v179, v[114:115] offset:3000
	ds_write_b64 v178, v[112:113] offset:24000
	;; [unrolled: 1-line block ×4, first 2 shown]
	v_add_co_u32 v94, s6, s10, v156
	v_add_co_ci_u32_e64 v95, null, s11, 0, s6
	v_add_co_u32 v92, vcc_lo, 0x2000, v176
	v_add_co_ci_u32_e32 v93, vcc_lo, 0, v188, vcc_lo
	s_waitcnt lgkmcnt(0)
	s_barrier
	buffer_gl0_inv
	global_load_dwordx4 v[104:107], v[96:97], off offset:768
	v_add_co_u32 v96, vcc_lo, 0x2000, v94
	s_clause 0x1
	global_load_dwordx4 v[100:103], v[154:155], off offset:768
	global_load_dwordx4 v[88:91], v[184:185], off offset:768
	v_add_co_ci_u32_e32 v97, vcc_lo, 0, v95, vcc_lo
	s_clause 0x1
	global_load_dwordx4 v[92:95], v[92:93], off offset:768
	global_load_dwordx4 v[96:99], v[96:97], off offset:768
	ds_read2_b64 v[112:115], v159 offset0:10 offset1:235
	ds_read2_b64 v[116:119], v164 offset0:6 offset1:231
	;; [unrolled: 1-line block ×5, first 2 shown]
	ds_read2_b64 v[192:195], v157 offset1:225
	ds_read_b64 v[206:207], v157 offset:25200
	ds_read2_b64 v[196:199], v163 offset0:2 offset1:227
	v_add_co_u32 v154, vcc_lo, 0x6800, v108
	v_add_co_ci_u32_e32 v155, vcc_lo, 0, v109, vcc_lo
	v_add_co_u32 v200, vcc_lo, 0x6978, v108
	v_add_co_ci_u32_e32 v201, vcc_lo, 0, v109, vcc_lo
	;; [unrolled: 2-line block ×3, first 2 shown]
	v_add_co_u32 v204, vcc_lo, 0x9800, v108
	v_add_nc_u32_e32 v176, 0x4d00, v157
	v_add_co_ci_u32_e32 v205, vcc_lo, 0, v109, vcc_lo
	s_mul_hi_u32 s6, s0, 0x1518
	s_waitcnt vmcnt(4) lgkmcnt(7)
	v_mul_f32_e32 v156, v113, v107
	v_mul_f32_e32 v208, v112, v107
	s_waitcnt vmcnt(3)
	v_mul_f32_e32 v210, v114, v103
	s_waitcnt lgkmcnt(5)
	v_mul_f32_e32 v215, v182, v105
	v_mul_f32_e32 v216, v183, v105
	;; [unrolled: 1-line block ×5, first 2 shown]
	s_waitcnt vmcnt(2)
	v_mul_f32_e32 v213, v119, v89
	v_mul_f32_e32 v214, v118, v89
	s_waitcnt lgkmcnt(4)
	v_mul_f32_e32 v217, v185, v91
	v_mul_f32_e32 v218, v184, v91
	s_waitcnt vmcnt(1)
	v_mul_f32_e32 v219, v187, v95
	v_mul_f32_e32 v220, v186, v95
	s_waitcnt lgkmcnt(3)
	v_mul_f32_e32 v221, v189, v93
	v_mul_f32_e32 v222, v188, v93
	;; [unrolled: 6-line block ×3, first 2 shown]
	v_fma_f32 v112, v112, v106, -v156
	v_fmac_f32_e32 v208, v113, v106
	v_fmac_f32_e32 v210, v115, v102
	;; [unrolled: 1-line block ×3, first 2 shown]
	v_fma_f32 v115, v182, v104, -v216
	v_fma_f32 v156, v114, v102, -v209
	;; [unrolled: 1-line block ×3, first 2 shown]
	v_fmac_f32_e32 v212, v117, v100
	v_fma_f32 v114, v118, v88, -v213
	v_fmac_f32_e32 v214, v119, v88
	v_fma_f32 v182, v184, v90, -v217
	;; [unrolled: 2-line block ×5, first 2 shown]
	v_fmac_f32_e32 v224, v191, v96
	v_fmac_f32_e32 v225, v207, v98
	v_fma_f32 v186, v206, v98, -v226
	v_add_f32_e32 v119, v215, v208
	v_add_f32_e32 v185, v115, v112
	;; [unrolled: 1-line block ×4, first 2 shown]
	v_sub_f32_e32 v206, v212, v210
	v_add_f32_e32 v189, v212, v210
	v_add_f32_e32 v207, v113, v156
	;; [unrolled: 1-line block ×4, first 2 shown]
	v_sub_f32_e32 v190, v215, v208
	v_add_f32_e32 v183, v192, v115
	v_sub_f32_e32 v191, v115, v112
	v_sub_f32_e32 v215, v114, v182
	s_waitcnt lgkmcnt(0)
	v_add_f32_e32 v216, v196, v114
	v_add_f32_e32 v219, v199, v222
	v_sub_f32_e32 v221, v222, v220
	v_add_f32_e32 v222, v222, v220
	v_add_f32_e32 v223, v116, v184
	;; [unrolled: 1-line block ×3, first 2 shown]
	v_sub_f32_e32 v228, v224, v225
	v_add_f32_e32 v224, v224, v225
	v_add_f32_e32 v230, v117, v186
	v_fma_f32 v114, -0.5, v185, v192
	v_fma_f32 v115, -0.5, v119, v193
	v_add_f32_e32 v187, v194, v113
	v_sub_f32_e32 v209, v113, v156
	v_sub_f32_e32 v213, v214, v218
	v_add_f32_e32 v113, v118, v208
	v_fma_f32 v194, -0.5, v207, v194
	v_fmac_f32_e32 v195, -0.5, v189
	v_fma_f32 v118, -0.5, v211, v196
	v_fma_f32 v119, -0.5, v212, v197
	v_add_f32_e32 v214, v197, v214
	v_add_f32_e32 v217, v198, v116
	v_sub_f32_e32 v226, v116, v184
	v_add_f32_e32 v229, v180, v117
	v_sub_f32_e32 v231, v117, v186
	v_add_f32_e32 v117, v188, v210
	v_fma_f32 v198, -0.5, v223, v198
	v_fmac_f32_e32 v199, -0.5, v222
	v_fma_f32 v180, -0.5, v230, v180
	v_fmac_f32_e32 v181, -0.5, v224
	v_fmamk_f32 v188, v190, 0x3f5db3d7, v114
	v_fmamk_f32 v189, v191, 0xbf5db3d7, v115
	v_fmac_f32_e32 v114, 0xbf5db3d7, v190
	v_fmac_f32_e32 v115, 0x3f5db3d7, v191
	v_add_f32_e32 v112, v183, v112
	v_add_f32_e32 v116, v187, v156
	v_fmamk_f32 v190, v206, 0x3f5db3d7, v194
	v_fmac_f32_e32 v194, 0xbf5db3d7, v206
	v_fmamk_f32 v191, v209, 0xbf5db3d7, v195
	v_fmac_f32_e32 v195, 0x3f5db3d7, v209
	;; [unrolled: 2-line block ×4, first 2 shown]
	v_add_f32_e32 v182, v216, v182
	v_add_f32_e32 v183, v214, v218
	;; [unrolled: 1-line block ×6, first 2 shown]
	v_fmamk_f32 v196, v221, 0x3f5db3d7, v198
	v_fmac_f32_e32 v198, 0xbf5db3d7, v221
	v_fmamk_f32 v197, v226, 0xbf5db3d7, v199
	v_fmac_f32_e32 v199, 0x3f5db3d7, v226
	;; [unrolled: 2-line block ×4, first 2 shown]
	ds_write_b64 v157, v[188:189] offset:9000
	ds_write_b64 v157, v[114:115] offset:18000
	ds_write2_b64 v157, v[112:113], v[116:117] offset1:225
	ds_write2_b64 v176, v[194:195], v[118:119] offset0:11 offset1:236
	ds_write2_b64 v164, v[190:191], v[192:193] offset0:6 offset1:231
	;; [unrolled: 1-line block ×3, first 2 shown]
	ds_write_b64 v157, v[198:199] offset:23400
	ds_write_b64 v157, v[186:187] offset:7200
	ds_write2_b64 v162, v[196:197], v[206:207] offset0:8 offset1:233
	ds_write_b64 v157, v[180:181] offset:25200
	v_add_co_u32 v112, vcc_lo, 0xb800, v108
	v_add_co_ci_u32_e32 v113, vcc_lo, 0, v109, vcc_lo
	v_add_co_u32 v114, vcc_lo, 0xc000, v108
	s_waitcnt lgkmcnt(0)
	s_barrier
	buffer_gl0_inv
	global_load_dwordx2 v[116:117], v[154:155], off offset:376
	v_add_co_ci_u32_e32 v115, vcc_lo, 0, v109, vcc_lo
	v_add_co_u32 v118, vcc_lo, 0x7800, v108
	v_add_co_ci_u32_e32 v119, vcc_lo, 0, v109, vcc_lo
	v_add_co_u32 v154, vcc_lo, 0xc800, v108
	v_add_co_ci_u32_e32 v155, vcc_lo, 0, v109, vcc_lo
	s_clause 0x2
	global_load_dwordx2 v[196:197], v[202:203], off offset:936
	global_load_dwordx2 v[198:199], v[118:119], off offset:1680
	;; [unrolled: 1-line block ×3, first 2 shown]
	v_add_co_u32 v118, vcc_lo, 0x7000, v108
	global_load_dwordx2 v[154:155], v[154:155], off offset:1000
	v_add_co_ci_u32_e32 v119, vcc_lo, 0, v109, vcc_lo
	v_add_co_u32 v180, vcc_lo, 0x8000, v108
	v_add_co_ci_u32_e32 v181, vcc_lo, 0, v109, vcc_lo
	v_add_co_u32 v182, vcc_lo, 0x8800, v108
	v_add_co_ci_u32_e32 v183, vcc_lo, 0, v109, vcc_lo
	s_clause 0x1
	global_load_dwordx2 v[200:201], v[204:205], off offset:688
	global_load_dwordx2 v[202:203], v[112:113], off offset:1496
	v_add_co_u32 v112, vcc_lo, 0xa800, v108
	v_add_co_ci_u32_e32 v113, vcc_lo, 0, v109, vcc_lo
	s_clause 0x1
	global_load_dwordx2 v[204:205], v[114:115], off offset:1248
	global_load_dwordx2 v[206:207], v[118:119], off offset:1928
	v_add_co_u32 v114, vcc_lo, 0xa000, v108
	v_add_co_ci_u32_e32 v115, vcc_lo, 0, v109, vcc_lo
	v_add_co_u32 v108, vcc_lo, 0xb000, v108
	v_add_co_ci_u32_e32 v109, vcc_lo, 0, v109, vcc_lo
	s_clause 0x5
	global_load_dwordx2 v[208:209], v[180:181], off offset:1432
	global_load_dwordx2 v[210:211], v[182:183], off offset:1184
	;; [unrolled: 1-line block ×6, first 2 shown]
	ds_read2_b64 v[112:115], v157 offset1:225
	ds_read_b64 v[194:195], v157 offset:25200
	v_add_nc_u32_e32 v222, 0x1500, v157
	v_add_nc_u32_e32 v223, 0x3f00, v157
	;; [unrolled: 1-line block ×4, first 2 shown]
	s_waitcnt vmcnt(14) lgkmcnt(1)
	v_mul_f32_e32 v119, v113, v117
	v_mul_f32_e32 v118, v112, v117
	v_fma_f32 v117, v112, v116, -v119
	v_fmac_f32_e32 v118, v113, v116
	ds_write_b64 v157, v[117:118]
	ds_read2_b64 v[116:119], v164 offset0:6 offset1:231
	s_waitcnt vmcnt(11)
	v_mul_f32_e32 v112, v115, v193
	v_mul_f32_e32 v156, v114, v193
	s_waitcnt vmcnt(10) lgkmcnt(2)
	v_mul_f32_e32 v193, v195, v155
	v_mul_f32_e32 v219, v194, v155
	ds_read2_b64 v[180:183], v161 offset0:12 offset1:237
	ds_read2_b64 v[184:187], v163 offset0:2 offset1:227
	;; [unrolled: 1-line block ×3, first 2 shown]
	v_fma_f32 v155, v114, v192, -v112
	v_fmac_f32_e32 v156, v115, v192
	ds_read2_b64 v[112:115], v162 offset0:8 offset1:233
	v_fma_f32 v218, v194, v154, -v193
	v_fmac_f32_e32 v219, v195, v154
	ds_read2_b64 v[192:195], v159 offset0:10 offset1:235
	s_waitcnt lgkmcnt(5)
	v_mul_f32_e32 v154, v117, v197
	v_mul_f32_e32 v221, v116, v197
	s_waitcnt vmcnt(9)
	v_mul_f32_e32 v226, v119, v201
	v_mul_f32_e32 v197, v118, v201
	s_waitcnt vmcnt(8) lgkmcnt(4)
	v_mul_f32_e32 v227, v181, v203
	v_mul_f32_e32 v201, v180, v203
	s_waitcnt vmcnt(7)
	v_mul_f32_e32 v228, v183, v205
	v_mul_f32_e32 v203, v182, v205
	s_waitcnt lgkmcnt(3)
	v_mul_f32_e32 v229, v187, v199
	v_mul_f32_e32 v205, v186, v199
	s_waitcnt vmcnt(6)
	v_mul_f32_e32 v230, v185, v207
	v_mul_f32_e32 v199, v184, v207
	s_waitcnt vmcnt(5) lgkmcnt(2)
	v_mul_f32_e32 v231, v189, v209
	v_mul_f32_e32 v207, v188, v209
	s_waitcnt vmcnt(4)
	v_mul_f32_e32 v232, v191, v211
	v_mul_f32_e32 v209, v190, v211
	s_waitcnt vmcnt(3) lgkmcnt(1)
	v_mul_f32_e32 v233, v115, v213
	v_mul_f32_e32 v211, v114, v213
	v_fma_f32 v220, v116, v196, -v154
	v_fmac_f32_e32 v221, v117, v196
	s_waitcnt vmcnt(1) lgkmcnt(0)
	v_mul_f32_e32 v117, v193, v217
	v_fma_f32 v196, v118, v200, -v226
	v_mul_f32_e32 v118, v192, v217
	v_mul_f32_e32 v234, v113, v215
	;; [unrolled: 1-line block ×3, first 2 shown]
	v_fmac_f32_e32 v197, v119, v200
	s_waitcnt vmcnt(0)
	v_mul_f32_e32 v119, v195, v109
	v_mul_f32_e32 v213, v194, v109
	v_fma_f32 v200, v180, v202, -v227
	v_fmac_f32_e32 v201, v181, v202
	v_fma_f32 v202, v182, v204, -v228
	v_fmac_f32_e32 v203, v183, v204
	;; [unrolled: 2-line block ×10, first 2 shown]
	ds_write2_b64 v222, v[204:205], v[206:207] offset0:3 offset1:228
	ds_write2_b64 v223, v[210:211], v[117:118] offset0:9 offset1:234
	;; [unrolled: 1-line block ×7, first 2 shown]
	s_waitcnt lgkmcnt(0)
	s_barrier
	buffer_gl0_inv
	ds_read2_b64 v[108:111], v163 offset0:2 offset1:227
	ds_read2_b64 v[180:183], v164 offset0:6 offset1:231
	;; [unrolled: 1-line block ×4, first 2 shown]
	ds_read2_b64 v[112:115], v157 offset1:225
	ds_read_b64 v[154:155], v157 offset:25200
	ds_read2_b64 v[188:191], v160 offset0:4 offset1:229
	ds_read2_b64 v[192:195], v159 offset0:10 offset1:235
	s_waitcnt lgkmcnt(0)
	s_barrier
	buffer_gl0_inv
	v_sub_f32_e32 v156, v110, v180
	v_add_f32_e32 v197, v180, v186
	v_add_f32_e32 v198, v181, v187
	;; [unrolled: 1-line block ×10, first 2 shown]
	v_sub_f32_e32 v196, v116, v186
	v_sub_f32_e32 v199, v111, v181
	;; [unrolled: 1-line block ×5, first 2 shown]
	v_add_f32_e32 v215, v114, v188
	v_add_f32_e32 v220, v115, v189
	;; [unrolled: 1-line block ×6, first 2 shown]
	v_sub_f32_e32 v203, v111, v117
	v_sub_f32_e32 v204, v110, v116
	;; [unrolled: 1-line block ×4, first 2 shown]
	v_add_f32_e32 v230, v109, v191
	v_add_f32_e32 v236, v108, v190
	v_fma_f32 v110, -0.5, v197, v112
	v_fma_f32 v111, -0.5, v198, v113
	v_sub_f32_e32 v205, v181, v187
	v_sub_f32_e32 v206, v180, v186
	v_add_f32_e32 v197, v201, v180
	v_add_f32_e32 v198, v202, v181
	v_fma_f32 v112, -0.5, v209, v112
	v_fma_f32 v113, -0.5, v210, v113
	v_sub_f32_e32 v216, v182, v188
	v_sub_f32_e32 v221, v183, v189
	;; [unrolled: 1-line block ×10, first 2 shown]
	v_fma_f32 v180, -0.5, v213, v114
	v_fma_f32 v114, -0.5, v214, v114
	;; [unrolled: 1-line block ×3, first 2 shown]
	v_fmac_f32_e32 v115, -0.5, v219
	v_sub_f32_e32 v217, v192, v118
	v_sub_f32_e32 v231, v185, v191
	;; [unrolled: 1-line block ×11, first 2 shown]
	v_add_f32_e32 v156, v156, v196
	v_add_f32_e32 v196, v199, v200
	;; [unrolled: 1-line block ×5, first 2 shown]
	v_fma_f32 v182, -0.5, v227, v108
	v_fma_f32 v183, -0.5, v228, v109
	v_fmac_f32_e32 v109, -0.5, v229
	v_fma_f32 v108, -0.5, v235, v108
	v_add_f32_e32 v200, v211, v212
	v_add_f32_e32 v210, v236, v184
	;; [unrolled: 1-line block ×3, first 2 shown]
	v_fmamk_f32 v184, v203, 0xbf737871, v110
	v_fmamk_f32 v185, v204, 0x3f737871, v111
	v_add_f32_e32 v197, v197, v186
	v_add_f32_e32 v198, v198, v187
	v_fmamk_f32 v186, v205, 0x3f737871, v112
	v_fmac_f32_e32 v112, 0xbf737871, v205
	v_fmamk_f32 v187, v206, 0xbf737871, v113
	v_fmac_f32_e32 v113, 0x3f737871, v206
	v_fmac_f32_e32 v110, 0x3f737871, v203
	;; [unrolled: 1-line block ×3, first 2 shown]
	v_sub_f32_e32 v222, v193, v119
	v_add_f32_e32 v212, v188, v237
	v_add_f32_e32 v213, v189, v238
	v_fmamk_f32 v188, v223, 0x3f737871, v114
	v_fmac_f32_e32 v114, 0xbf737871, v223
	v_fmamk_f32 v189, v225, 0xbf737871, v115
	v_fmac_f32_e32 v115, 0x3f737871, v225
	v_sub_f32_e32 v232, v195, v155
	v_add_f32_e32 v201, v216, v217
	v_add_f32_e32 v214, v240, v191
	;; [unrolled: 1-line block ×3, first 2 shown]
	v_fmamk_f32 v191, v233, 0xbf737871, v109
	v_fmac_f32_e32 v109, 0x3f737871, v233
	v_add_f32_e32 v207, v207, v192
	v_add_f32_e32 v208, v208, v193
	v_fmamk_f32 v192, v224, 0xbf737871, v180
	v_fmamk_f32 v193, v226, 0x3f737871, v181
	;; [unrolled: 1-line block ×3, first 2 shown]
	v_fmac_f32_e32 v108, 0xbf737871, v239
	v_sub_f32_e32 v244, v155, v195
	v_add_f32_e32 v210, v210, v194
	v_add_f32_e32 v211, v211, v195
	v_fmac_f32_e32 v180, 0x3f737871, v224
	v_fmac_f32_e32 v181, 0xbf737871, v226
	v_fmamk_f32 v194, v242, 0xbf737871, v182
	v_fmac_f32_e32 v182, 0x3f737871, v242
	v_fmamk_f32 v195, v234, 0x3f737871, v183
	v_fmac_f32_e32 v183, 0xbf737871, v234
	v_fmac_f32_e32 v184, 0xbf167918, v205
	;; [unrolled: 1-line block ×9, first 2 shown]
	v_add_f32_e32 v202, v221, v222
	v_fmac_f32_e32 v188, 0xbf167918, v224
	v_fmac_f32_e32 v114, 0x3f167918, v224
	;; [unrolled: 1-line block ×4, first 2 shown]
	v_add_f32_e32 v209, v231, v232
	v_fmac_f32_e32 v109, 0xbf167918, v234
	v_fmac_f32_e32 v192, 0xbf167918, v223
	;; [unrolled: 1-line block ×4, first 2 shown]
	v_add_f32_e32 v215, v241, v244
	v_add_f32_e32 v116, v197, v116
	;; [unrolled: 1-line block ×3, first 2 shown]
	v_fmac_f32_e32 v180, 0x3f167918, v223
	v_fmac_f32_e32 v181, 0xbf167918, v225
	;; [unrolled: 1-line block ×20, first 2 shown]
	v_add_f32_e32 v118, v207, v118
	v_add_f32_e32 v119, v208, v119
	v_fmac_f32_e32 v109, 0x3e9e377a, v209
	v_fmac_f32_e32 v192, 0x3e9e377a, v212
	;; [unrolled: 1-line block ×4, first 2 shown]
	v_add_f32_e32 v154, v210, v154
	v_add_f32_e32 v155, v211, v155
	v_fmac_f32_e32 v180, 0x3e9e377a, v212
	v_fmac_f32_e32 v181, 0x3e9e377a, v213
	;; [unrolled: 1-line block ×8, first 2 shown]
	ds_write2_b64 v151, v[116:117], v[184:185] offset1:1
	ds_write2_b64 v151, v[186:187], v[112:113] offset0:2 offset1:3
	ds_write_b64 v151, v[110:111] offset:32
	ds_write2_b64 v153, v[188:189], v[114:115] offset0:2 offset1:3
	ds_write2_b64 v153, v[118:119], v[192:193] offset1:1
	ds_write_b64 v153, v[180:181] offset:32
	ds_write2_b64 v152, v[154:155], v[194:195] offset1:1
	ds_write_b64 v152, v[182:183] offset:32
	ds_write2_b64 v152, v[190:191], v[108:109] offset0:2 offset1:3
	s_waitcnt lgkmcnt(0)
	s_barrier
	buffer_gl0_inv
	ds_read_b64 v[151:152], v157 offset:25200
	ds_read2_b64 v[108:111], v159 offset0:10 offset1:235
	ds_read2_b64 v[112:115], v161 offset0:12 offset1:237
	;; [unrolled: 1-line block ×6, first 2 shown]
	ds_read2_b64 v[192:195], v157 offset1:225
	v_mad_u64_u32 v[153:154], null, s2, v150, 0
	v_mad_u64_u32 v[155:156], null, s0, v158, 0
	s_waitcnt lgkmcnt(0)
	s_barrier
	buffer_gl0_inv
	v_mul_f32_e32 v196, v67, v152
	v_mul_f32_e32 v197, v65, v111
	;; [unrolled: 1-line block ×24, first 2 shown]
	v_fmac_f32_e32 v197, v64, v110
	v_fma_f32 v64, v64, v111, -v65
	v_fma_f32 v65, v54, v113, -v55
	v_fmac_f32_e32 v201, v52, v118
	v_fma_f32 v52, v52, v119, -v53
	v_fmac_f32_e32 v204, v48, v180
	v_fmac_f32_e32 v206, v46, v184
	;; [unrolled: 1-line block ×3, first 2 shown]
	v_fma_f32 v44, v44, v191, -v45
	v_fma_f32 v45, v46, v185, -v47
	v_fmac_f32_e32 v200, v54, v112
	v_fma_f32 v54, v56, v183, -v57
	v_fmac_f32_e32 v196, v66, v151
	;; [unrolled: 2-line block ×7, first 2 shown]
	v_fma_f32 v53, v58, v117, -v59
	v_add_f32_e32 v51, v193, v44
	v_add_f32_e32 v55, v206, v201
	;; [unrolled: 1-line block ×3, first 2 shown]
	v_sub_f32_e32 v57, v44, v45
	v_sub_f32_e32 v110, v44, v65
	;; [unrolled: 1-line block ×3, first 2 shown]
	v_add_f32_e32 v63, v44, v65
	v_add_f32_e32 v44, v194, v204
	v_sub_f32_e32 v46, v207, v206
	v_sub_f32_e32 v47, v200, v201
	v_add_f32_e32 v61, v207, v200
	v_add_f32_e32 v191, v189, v54
	;; [unrolled: 1-line block ×6, first 2 shown]
	v_sub_f32_e32 v182, v49, v48
	v_sub_f32_e32 v184, v48, v49
	v_add_f32_e32 v185, v48, v67
	v_sub_f32_e32 v186, v48, v67
	v_add_f32_e32 v48, v188, v203
	v_add_f32_e32 v50, v192, v207
	v_sub_f32_e32 v111, v207, v200
	v_sub_f32_e32 v113, v45, v52
	;; [unrolled: 1-line block ×7, first 2 shown]
	v_add_f32_e32 v204, v202, v197
	v_add_f32_e32 v210, v203, v196
	;; [unrolled: 1-line block ×3, first 2 shown]
	v_sub_f32_e32 v214, v53, v54
	v_sub_f32_e32 v216, v54, v53
	v_add_f32_e32 v217, v54, v151
	v_sub_f32_e32 v218, v54, v151
	v_sub_f32_e32 v54, v64, v151
	v_add_f32_e32 v220, v51, v45
	v_add_f32_e32 v205, v44, v205
	v_fma_f32 v44, -0.5, v55, v192
	v_fma_f32 v45, -0.5, v56, v193
	v_sub_f32_e32 v112, v206, v201
	v_sub_f32_e32 v108, v52, v65
	;; [unrolled: 1-line block ×5, first 2 shown]
	v_add_f32_e32 v53, v191, v53
	v_add_f32_e32 v191, v46, v47
	v_fma_f32 v46, -0.5, v61, v192
	v_fma_f32 v47, -0.5, v63, v193
	v_sub_f32_e32 v58, v206, v207
	v_sub_f32_e32 v66, v65, v52
	;; [unrolled: 1-line block ×6, first 2 shown]
	v_add_f32_e32 v109, v109, v49
	v_add_f32_e32 v202, v48, v202
	v_fma_f32 v48, -0.5, v114, v194
	v_fma_f32 v194, -0.5, v118, v194
	;; [unrolled: 1-line block ×3, first 2 shown]
	v_fmac_f32_e32 v195, -0.5, v185
	v_sub_f32_e32 v59, v201, v200
	v_sub_f32_e32 v203, v203, v196
	v_add_f32_e32 v206, v50, v206
	v_add_f32_e32 v117, v117, v180
	v_fma_f32 v50, -0.5, v204, v188
	v_fma_f32 v188, -0.5, v210, v188
	;; [unrolled: 1-line block ×3, first 2 shown]
	v_fmac_f32_e32 v189, -0.5, v217
	v_add_f32_e32 v180, v214, v54
	v_fmamk_f32 v54, v110, 0xbf737871, v44
	v_fmamk_f32 v55, v111, 0x3f737871, v45
	v_add_f32_e32 v192, v62, v108
	v_add_f32_e32 v114, v115, v152
	;; [unrolled: 1-line block ×5, first 2 shown]
	v_fmamk_f32 v52, v113, 0x3f737871, v46
	v_fmac_f32_e32 v46, 0xbf737871, v113
	v_fmamk_f32 v53, v112, 0xbf737871, v47
	v_fmac_f32_e32 v47, 0x3f737871, v112
	v_fmac_f32_e32 v44, 0x3f737871, v110
	;; [unrolled: 1-line block ×3, first 2 shown]
	v_add_f32_e32 v221, v57, v66
	v_fmamk_f32 v56, v183, 0x3f737871, v194
	v_fmac_f32_e32 v194, 0xbf737871, v183
	v_fmamk_f32 v57, v116, 0xbf737871, v195
	v_fmac_f32_e32 v195, 0x3f737871, v116
	v_sub_f32_e32 v190, v67, v60
	v_add_f32_e32 v222, v58, v59
	v_fmamk_f32 v58, v186, 0xbf737871, v48
	v_fmamk_f32 v59, v119, 0x3f737871, v49
	v_sub_f32_e32 v211, v197, v196
	v_sub_f32_e32 v212, v196, v197
	;; [unrolled: 1-line block ×3, first 2 shown]
	v_add_f32_e32 v66, v206, v201
	v_add_f32_e32 v109, v109, v60
	v_fmac_f32_e32 v48, 0x3f737871, v186
	v_fmac_f32_e32 v49, 0xbf737871, v119
	v_fmamk_f32 v60, v215, 0x3f737871, v188
	v_fmac_f32_e32 v188, 0xbf737871, v215
	v_fmamk_f32 v62, v218, 0xbf737871, v50
	;; [unrolled: 2-line block ×4, first 2 shown]
	v_fmac_f32_e32 v51, 0xbf737871, v203
	v_fmac_f32_e32 v54, 0xbf167918, v113
	v_fmac_f32_e32 v55, 0x3f167918, v112
	v_fmac_f32_e32 v52, 0xbf167918, v110
	v_fmac_f32_e32 v46, 0x3f167918, v110
	v_fmac_f32_e32 v53, 0x3f167918, v111
	v_fmac_f32_e32 v47, 0xbf167918, v111
	v_fmac_f32_e32 v44, 0x3f167918, v113
	v_fmac_f32_e32 v45, 0xbf167918, v112
	v_fmac_f32_e32 v56, 0xbf167918, v186
	v_fmac_f32_e32 v194, 0x3f167918, v186
	v_fmac_f32_e32 v57, 0x3f167918, v119
	v_fmac_f32_e32 v195, 0xbf167918, v119
	v_add_f32_e32 v118, v184, v190
	v_add_f32_e32 v184, v205, v198
	v_fmac_f32_e32 v58, 0xbf167918, v183
	v_fmac_f32_e32 v59, 0x3f167918, v116
	v_add_f32_e32 v152, v207, v211
	v_add_f32_e32 v181, v209, v212
	;; [unrolled: 1-line block ×6, first 2 shown]
	v_fmac_f32_e32 v48, 0x3f167918, v183
	v_fmac_f32_e32 v49, 0xbf167918, v116
	;; [unrolled: 1-line block ×22, first 2 shown]
	v_add_f32_e32 v66, v184, v199
	v_add_f32_e32 v67, v109, v67
	v_fmac_f32_e32 v58, 0x3e9e377a, v117
	v_fmac_f32_e32 v59, 0x3e9e377a, v118
	v_add_f32_e32 v108, v185, v196
	v_add_f32_e32 v109, v187, v151
	v_fmac_f32_e32 v48, 0x3e9e377a, v117
	v_fmac_f32_e32 v49, 0x3e9e377a, v118
	;; [unrolled: 1-line block ×10, first 2 shown]
	ds_write2_b64 v168, v[64:65], v[54:55] offset1:5
	ds_write2_b64 v168, v[52:53], v[46:47] offset0:10 offset1:15
	ds_write_b64 v168, v[44:45] offset:160
	ds_write2_b64 v169, v[56:57], v[194:195] offset0:10 offset1:15
	ds_write2_b64 v169, v[66:67], v[58:59] offset1:5
	ds_write_b64 v169, v[48:49] offset:160
	ds_write2_b64 v170, v[60:61], v[188:189] offset0:10 offset1:15
	ds_write2_b64 v170, v[108:109], v[62:63] offset1:5
	ds_write_b64 v170, v[50:51] offset:160
	v_mov_b32_e32 v52, v154
	v_mov_b32_e32 v56, v156
	s_waitcnt lgkmcnt(0)
	s_barrier
	buffer_gl0_inv
	ds_read_b64 v[112:113], v157 offset:25200
	ds_read2_b64 v[44:47], v159 offset0:10 offset1:235
	ds_read2_b64 v[48:51], v161 offset0:12 offset1:237
	v_mad_u64_u32 v[114:115], null, s3, v150, v[52:53]
	ds_read2_b64 v[52:55], v162 offset0:8 offset1:233
	v_mad_u64_u32 v[115:116], null, s1, v158, v[56:57]
	ds_read2_b64 v[56:59], v160 offset0:4 offset1:229
	ds_read2_b64 v[60:63], v164 offset0:6 offset1:231
	;; [unrolled: 1-line block ×3, first 2 shown]
	ds_read2_b64 v[108:111], v157 offset1:225
	s_waitcnt lgkmcnt(0)
	s_barrier
	buffer_gl0_inv
	s_load_dwordx2 s[2:3], s[4:5], 0x38
	s_mul_i32 s5, s1, 0x1518
	s_mul_i32 s4, s0, 0x1518
	s_add_i32 s5, s6, s5
	s_mulk_i32 s1, 0xb2a8
	s_sub_i32 s1, s1, s0
	v_mul_f32_e32 v116, v43, v113
	v_mul_f32_e32 v117, v41, v47
	;; [unrolled: 1-line block ×24, first 2 shown]
	v_fmac_f32_e32 v117, v40, v46
	v_fma_f32 v40, v40, v47, -v41
	v_fmac_f32_e32 v150, v30, v48
	v_fma_f32 v41, v30, v49, -v31
	;; [unrolled: 2-line block ×3, first 2 shown]
	v_fmac_f32_e32 v168, v22, v60
	v_fmac_f32_e32 v169, v20, v66
	v_fma_f32 v22, v22, v61, -v23
	v_fma_f32 v20, v20, v67, -v21
	v_fmac_f32_e32 v116, v42, v112
	v_fma_f32 v112, v42, v113, -v43
	v_fmac_f32_e32 v118, v36, v44
	;; [unrolled: 2-line block ×7, first 2 shown]
	v_fma_f32 v30, v32, v59, -v33
	v_sub_f32_e32 v21, v169, v168
	v_sub_f32_e32 v23, v150, v151
	v_add_f32_e32 v25, v168, v151
	v_add_f32_e32 v27, v22, v28
	v_sub_f32_e32 v31, v20, v22
	v_sub_f32_e32 v32, v41, v28
	v_add_f32_e32 v34, v109, v20
	v_add_f32_e32 v33, v108, v169
	;; [unrolled: 1-line block ×8, first 2 shown]
	v_sub_f32_e32 v35, v168, v169
	v_sub_f32_e32 v37, v151, v150
	v_add_f32_e32 v51, v110, v156
	v_sub_f32_e32 v52, v158, v156
	v_add_f32_e32 v56, v111, v24
	v_sub_f32_e32 v62, v156, v119
	v_sub_f32_e32 v63, v156, v158
	v_add_f32_e32 v156, v64, v154
	v_add_f32_e32 v170, v152, v117
	;; [unrolled: 1-line block ×3, first 2 shown]
	v_sub_f32_e32 v42, v20, v41
	v_sub_f32_e32 v44, v169, v150
	;; [unrolled: 1-line block ×5, first 2 shown]
	v_add_f32_e32 v169, v65, v30
	v_add_f32_e32 v185, v154, v116
	v_sub_f32_e32 v188, v30, v29
	v_sub_f32_e32 v189, v29, v30
	;; [unrolled: 1-line block ×3, first 2 shown]
	v_add_f32_e32 v30, v30, v112
	v_add_f32_e32 v193, v21, v23
	v_fma_f32 v20, -0.5, v25, v108
	v_fma_f32 v21, -0.5, v27, v109
	v_add_f32_e32 v194, v31, v32
	v_add_f32_e32 v32, v34, v22
	v_sub_f32_e32 v45, v22, v28
	v_sub_f32_e32 v46, v168, v151
	v_add_f32_e32 v31, v33, v168
	v_fma_f32 v22, -0.5, v38, v108
	v_fma_f32 v23, -0.5, v47, v109
	v_sub_f32_e32 v59, v26, v36
	v_sub_f32_e32 v60, v24, v43
	;; [unrolled: 1-line block ×4, first 2 shown]
	v_fma_f32 v24, -0.5, v49, v110
	v_fma_f32 v110, -0.5, v50, v110
	v_fma_f32 v25, -0.5, v54, v111
	v_fmac_f32_e32 v111, -0.5, v55
	v_sub_f32_e32 v67, v119, v118
	v_sub_f32_e32 v113, v43, v36
	;; [unrolled: 1-line block ×5, first 2 shown]
	v_add_f32_e32 v168, v35, v37
	v_add_f32_e32 v34, v51, v158
	;; [unrolled: 1-line block ×4, first 2 shown]
	v_fma_f32 v26, -0.5, v170, v64
	v_fma_f32 v27, -0.5, v187, v65
	v_sub_f32_e32 v48, v28, v41
	v_sub_f32_e32 v182, v152, v117
	;; [unrolled: 1-line block ×3, first 2 shown]
	v_add_f32_e32 v49, v57, v58
	v_add_f32_e32 v38, v169, v29
	v_fma_f32 v64, -0.5, v185, v64
	v_fmac_f32_e32 v65, -0.5, v30
	v_add_f32_e32 v57, v32, v28
	v_fmamk_f32 v28, v42, 0xbf737871, v20
	v_fmamk_f32 v29, v44, 0x3f737871, v21
	v_add_f32_e32 v56, v31, v151
	v_fmamk_f32 v30, v45, 0x3f737871, v22
	v_fmac_f32_e32 v22, 0xbf737871, v45
	v_fmamk_f32 v31, v46, 0xbf737871, v23
	v_fmac_f32_e32 v23, 0x3f737871, v46
	v_fmac_f32_e32 v20, 0x3f737871, v42
	;; [unrolled: 1-line block ×3, first 2 shown]
	v_sub_f32_e32 v53, v118, v119
	v_fmamk_f32 v32, v59, 0x3f737871, v110
	v_fmac_f32_e32 v110, 0xbf737871, v59
	v_fmamk_f32 v33, v61, 0xbf737871, v111
	v_fmac_f32_e32 v111, 0x3f737871, v61
	v_sub_f32_e32 v183, v116, v117
	v_sub_f32_e32 v191, v112, v40
	v_add_f32_e32 v50, v63, v67
	v_add_f32_e32 v51, v66, v113
	v_add_f32_e32 v58, v34, v118
	v_add_f32_e32 v63, v35, v36
	v_fmamk_f32 v34, v60, 0xbf737871, v24
	v_fmamk_f32 v35, v62, 0x3f737871, v25
	v_fmac_f32_e32 v24, 0x3f737871, v60
	v_fmac_f32_e32 v25, 0xbf737871, v62
	v_add_f32_e32 v66, v37, v117
	v_fmamk_f32 v36, v190, 0xbf737871, v26
	v_fmac_f32_e32 v26, 0x3f737871, v190
	v_fmamk_f32 v37, v154, 0x3f737871, v27
	v_fmac_f32_e32 v27, 0xbf737871, v154
	v_sub_f32_e32 v184, v117, v116
	v_sub_f32_e32 v192, v40, v112
	v_add_f32_e32 v47, v39, v48
	v_add_f32_e32 v67, v38, v40
	v_fmamk_f32 v38, v186, 0x3f737871, v64
	v_fmac_f32_e32 v64, 0xbf737871, v186
	v_fmamk_f32 v39, v182, 0xbf737871, v65
	v_fmac_f32_e32 v65, 0x3f737871, v182
	v_fmac_f32_e32 v28, 0xbf167918, v45
	;; [unrolled: 1-line block ×9, first 2 shown]
	v_add_f32_e32 v48, v52, v53
	v_fmac_f32_e32 v32, 0xbf167918, v60
	v_fmac_f32_e32 v110, 0x3f167918, v60
	;; [unrolled: 1-line block ×4, first 2 shown]
	v_add_f32_e32 v52, v180, v183
	v_add_f32_e32 v54, v188, v191
	v_fmac_f32_e32 v34, 0xbf167918, v59
	v_fmac_f32_e32 v35, 0x3f167918, v61
	;; [unrolled: 1-line block ×6, first 2 shown]
	v_add_f32_e32 v53, v181, v184
	v_add_f32_e32 v55, v189, v192
	;; [unrolled: 1-line block ×4, first 2 shown]
	v_fmac_f32_e32 v36, 0xbf167918, v186
	v_fmac_f32_e32 v38, 0xbf167918, v190
	;; [unrolled: 1-line block ×18, first 2 shown]
	v_add_f32_e32 v42, v58, v119
	v_add_f32_e32 v43, v63, v43
	v_fmac_f32_e32 v34, 0x3e9e377a, v50
	v_fmac_f32_e32 v35, 0x3e9e377a, v51
	;; [unrolled: 1-line block ×6, first 2 shown]
	v_add_f32_e32 v44, v66, v116
	v_add_f32_e32 v45, v67, v112
	v_fmac_f32_e32 v36, 0x3e9e377a, v52
	v_fmac_f32_e32 v38, 0x3e9e377a, v53
	;; [unrolled: 1-line block ×6, first 2 shown]
	ds_write2_b64 v165, v[40:41], v[28:29] offset1:25
	ds_write2_b64 v165, v[30:31], v[22:23] offset0:50 offset1:75
	ds_write_b64 v165, v[20:21] offset:800
	ds_write2_b64 v167, v[32:33], v[110:111] offset0:50 offset1:75
	ds_write2_b64 v167, v[42:43], v[34:35] offset1:25
	ds_write_b64 v167, v[24:25] offset:800
	ds_write2_b64 v166, v[44:45], v[36:37] offset1:25
	ds_write2_b64 v166, v[38:39], v[64:65] offset0:50 offset1:75
	ds_write_b64 v166, v[26:27] offset:800
	s_waitcnt lgkmcnt(0)
	s_barrier
	buffer_gl0_inv
	ds_read2_b64 v[20:23], v160 offset0:4 offset1:229
	ds_read2_b64 v[24:27], v159 offset0:10 offset1:235
	ds_read2_b64 v[28:31], v164 offset0:6 offset1:231
	ds_read2_b64 v[32:35], v161 offset0:12 offset1:237
	ds_read2_b64 v[36:39], v162 offset0:8 offset1:233
	ds_read_b64 v[52:53], v157 offset:25200
	ds_read2_b64 v[40:43], v157 offset1:225
	ds_read2_b64 v[44:47], v163 offset0:2 offset1:227
	s_waitcnt lgkmcnt(0)
	s_barrier
	buffer_gl0_inv
	v_mov_b32_e32 v154, v114
	v_mov_b32_e32 v156, v115
	v_lshlrev_b64 v[48:49], 3, v[153:154]
	v_lshlrev_b64 v[50:51], 3, v[155:156]
	v_mul_f32_e32 v54, v17, v23
	v_mul_f32_e32 v17, v17, v22
	;; [unrolled: 1-line block ×20, first 2 shown]
	v_fmac_f32_e32 v54, v16, v22
	v_fma_f32 v16, v16, v23, -v17
	v_fmac_f32_e32 v55, v18, v24
	v_fma_f32 v17, v18, v25, -v19
	;; [unrolled: 2-line block ×10, first 2 shown]
	v_add_f32_e32 v1, v54, v55
	v_add_f32_e32 v3, v16, v17
	v_add_f32_e32 v6, v43, v12
	v_sub_f32_e32 v19, v12, v14
	v_add_f32_e32 v12, v12, v14
	v_add_f32_e32 v13, v57, v56
	;; [unrolled: 1-line block ×5, first 2 shown]
	v_sub_f32_e32 v18, v16, v17
	v_add_f32_e32 v5, v41, v16
	v_sub_f32_e32 v16, v54, v55
	v_add_f32_e32 v7, v42, v57
	v_add_f32_e32 v15, v45, v8
	;; [unrolled: 1-line block ×5, first 2 shown]
	v_sub_f32_e32 v34, v0, v11
	v_add_f32_e32 v35, v0, v11
	v_add_f32_e32 v37, v62, v63
	v_fma_f32 v0, -0.5, v1, v40
	v_fma_f32 v1, -0.5, v3, v41
	v_sub_f32_e32 v22, v57, v56
	v_fma_f32 v42, -0.5, v13, v42
	v_fmac_f32_e32 v43, -0.5, v12
	v_sub_f32_e32 v23, v8, v9
	v_add_f32_e32 v8, v44, v58
	v_sub_f32_e32 v26, v58, v59
	v_fma_f32 v12, -0.5, v25, v44
	v_fma_f32 v13, -0.5, v24, v45
	v_add_f32_e32 v27, v47, v4
	v_sub_f32_e32 v28, v4, v10
	v_add_f32_e32 v30, v46, v61
	v_sub_f32_e32 v32, v61, v60
	v_add_f32_e32 v36, v20, v62
	v_sub_f32_e32 v38, v62, v63
	v_add_f32_e32 v2, v2, v55
	v_add_f32_e32 v3, v5, v17
	;; [unrolled: 1-line block ×5, first 2 shown]
	v_fma_f32 v46, -0.5, v31, v46
	v_fmac_f32_e32 v47, -0.5, v29
	v_fma_f32 v20, -0.5, v37, v20
	v_fmac_f32_e32 v21, -0.5, v35
	v_fmamk_f32 v14, v18, 0xbf5db3d7, v0
	v_fmamk_f32 v15, v16, 0x3f5db3d7, v1
	v_fmac_f32_e32 v0, 0x3f5db3d7, v18
	v_fmac_f32_e32 v1, 0xbf5db3d7, v16
	v_fmamk_f32 v16, v19, 0xbf5db3d7, v42
	v_fmamk_f32 v17, v22, 0x3f5db3d7, v43
	v_fmac_f32_e32 v42, 0x3f5db3d7, v19
	v_fmac_f32_e32 v43, 0xbf5db3d7, v22
	v_add_f32_e32 v6, v8, v59
	v_fmamk_f32 v18, v23, 0xbf5db3d7, v12
	v_fmamk_f32 v19, v26, 0x3f5db3d7, v13
	v_add_f32_e32 v9, v27, v10
	v_add_f32_e32 v8, v30, v60
	;; [unrolled: 1-line block ×4, first 2 shown]
	v_fmac_f32_e32 v12, 0x3f5db3d7, v23
	v_fmac_f32_e32 v13, 0xbf5db3d7, v26
	v_fmamk_f32 v22, v28, 0xbf5db3d7, v46
	v_fmac_f32_e32 v46, 0x3f5db3d7, v28
	v_fmamk_f32 v23, v32, 0x3f5db3d7, v47
	v_fmac_f32_e32 v47, 0xbf5db3d7, v32
	v_fmamk_f32 v24, v34, 0xbf5db3d7, v20
	v_fmac_f32_e32 v20, 0x3f5db3d7, v34
	v_fmamk_f32 v25, v38, 0x3f5db3d7, v21
	v_fmac_f32_e32 v21, 0xbf5db3d7, v38
	ds_write2_b64 v171, v[2:3], v[14:15] offset1:125
	ds_write_b64 v171, v[0:1] offset:2000
	ds_write2_b64 v175, v[4:5], v[16:17] offset1:125
	ds_write_b64 v175, v[42:43] offset:2000
	;; [unrolled: 2-line block ×5, first 2 shown]
	s_waitcnt lgkmcnt(0)
	s_barrier
	buffer_gl0_inv
	ds_read2_b64 v[4:7], v160 offset0:4 offset1:229
	ds_read2_b64 v[8:11], v159 offset0:10 offset1:235
	;; [unrolled: 1-line block ×5, first 2 shown]
	ds_read2_b64 v[24:27], v157 offset1:225
	ds_read2_b64 v[28:31], v163 offset0:2 offset1:227
	ds_read_b64 v[32:33], v157 offset:25200
	v_add_co_u32 v0, vcc_lo, s2, v48
	v_add_co_ci_u32_e32 v1, vcc_lo, s3, v49, vcc_lo
	s_waitcnt lgkmcnt(0)
	v_add_co_u32 v0, vcc_lo, v0, v50
	v_add_co_ci_u32_e32 v1, vcc_lo, v1, v51, vcc_lo
	s_barrier
	buffer_gl0_inv
	s_mov_b32 s2, 0xe70b7421
	s_mov_b32 s3, 0x3f336b06
	v_add_co_u32 v2, vcc_lo, v0, s4
	v_add_co_ci_u32_e32 v3, vcc_lo, s5, v1, vcc_lo
	v_mul_f32_e32 v34, v81, v7
	v_mul_f32_e32 v35, v81, v6
	;; [unrolled: 1-line block ×20, first 2 shown]
	v_fmac_f32_e32 v34, v80, v6
	v_fma_f32 v6, v80, v7, -v35
	v_fmac_f32_e32 v36, v82, v8
	v_fma_f32 v7, v82, v9, -v37
	;; [unrolled: 2-line block ×10, first 2 shown]
	v_add_f32_e32 v15, v34, v36
	v_add_f32_e32 v18, v6, v7
	;; [unrolled: 1-line block ×3, first 2 shown]
	v_sub_f32_e32 v22, v34, v36
	v_add_f32_e32 v20, v26, v38
	v_add_f32_e32 v23, v38, v40
	;; [unrolled: 1-line block ×3, first 2 shown]
	v_sub_f32_e32 v35, v38, v40
	v_add_f32_e32 v38, v42, v44
	v_add_f32_e32 v43, v9, v13
	;; [unrolled: 1-line block ×7, first 2 shown]
	v_sub_f32_e32 v21, v6, v7
	v_sub_f32_e32 v32, v8, v11
	v_add_f32_e32 v33, v27, v8
	v_sub_f32_e32 v39, v9, v13
	v_add_f32_e32 v41, v29, v9
	v_fma_f32 v8, -0.5, v15, v24
	v_fma_f32 v9, -0.5, v18, v25
	v_add_f32_e32 v37, v28, v42
	v_sub_f32_e32 v42, v42, v44
	v_add_f32_e32 v45, v30, v46
	v_add_f32_e32 v51, v31, v10
	;; [unrolled: 1-line block ×5, first 2 shown]
	v_fma_f32 v26, -0.5, v23, v26
	v_fmac_f32_e32 v27, -0.5, v34
	v_fma_f32 v14, -0.5, v38, v28
	v_fma_f32 v15, -0.5, v43, v29
	v_sub_f32_e32 v49, v10, v17
	v_sub_f32_e32 v46, v46, v48
	;; [unrolled: 1-line block ×4, first 2 shown]
	v_add_f32_e32 v7, v16, v7
	v_fma_f32 v30, -0.5, v47, v30
	v_fmac_f32_e32 v31, -0.5, v53
	v_fma_f32 v4, -0.5, v55, v4
	v_fmac_f32_e32 v5, -0.5, v58
	v_add_f32_e32 v10, v20, v40
	v_fmamk_f32 v20, v21, 0xbf5db3d7, v8
	v_fmac_f32_e32 v8, 0x3f5db3d7, v21
	v_fmamk_f32 v21, v22, 0x3f5db3d7, v9
	v_fmac_f32_e32 v9, 0xbf5db3d7, v22
	v_add_f32_e32 v11, v33, v11
	v_add_f32_e32 v12, v37, v44
	;; [unrolled: 1-line block ×7, first 2 shown]
	v_fmamk_f32 v22, v32, 0xbf5db3d7, v26
	v_fmamk_f32 v23, v35, 0x3f5db3d7, v27
	;; [unrolled: 1-line block ×3, first 2 shown]
	v_fmac_f32_e32 v14, 0x3f5db3d7, v39
	v_fmamk_f32 v25, v42, 0x3f5db3d7, v15
	v_fmac_f32_e32 v15, 0xbf5db3d7, v42
	v_fmac_f32_e32 v26, 0x3f5db3d7, v32
	;; [unrolled: 1-line block ×3, first 2 shown]
	v_fmamk_f32 v28, v49, 0xbf5db3d7, v30
	v_fmac_f32_e32 v30, 0x3f5db3d7, v49
	v_fmamk_f32 v29, v46, 0x3f5db3d7, v31
	v_fmac_f32_e32 v31, 0xbf5db3d7, v46
	;; [unrolled: 2-line block ×4, first 2 shown]
	ds_write_b64 v157, v[6:7]
	ds_write_b64 v157, v[20:21] offset:3000
	ds_write_b64 v157, v[8:9] offset:6000
	ds_write_b64 v177, v[10:11]
	ds_write_b64 v177, v[22:23] offset:3000
	ds_write_b64 v177, v[26:27] offset:6000
	;; [unrolled: 1-line block ×5, first 2 shown]
	ds_write_b64 v179, v[16:17]
	ds_write_b64 v179, v[28:29] offset:3000
	ds_write_b64 v179, v[30:31] offset:6000
	ds_write_b64 v178, v[18:19] offset:18000
	ds_write_b64 v178, v[32:33] offset:21000
	ds_write_b64 v178, v[4:5] offset:24000
	s_waitcnt lgkmcnt(0)
	s_barrier
	buffer_gl0_inv
	ds_read2_b64 v[8:11], v160 offset0:4 offset1:229
	ds_read2_b64 v[12:15], v159 offset0:10 offset1:235
	;; [unrolled: 1-line block ×5, first 2 shown]
	ds_read2_b64 v[28:31], v157 offset1:225
	ds_read_b64 v[38:39], v157 offset:25200
	ds_read2_b64 v[32:35], v163 offset0:2 offset1:227
	v_add_co_u32 v4, vcc_lo, v2, s4
	v_add_co_ci_u32_e32 v5, vcc_lo, s5, v3, vcc_lo
	v_add_co_u32 v6, vcc_lo, v4, s4
	v_add_co_ci_u32_e32 v7, vcc_lo, s5, v5, vcc_lo
	;; [unrolled: 2-line block ×3, first 2 shown]
	s_waitcnt lgkmcnt(7)
	v_mul_f32_e32 v40, v105, v11
	v_mul_f32_e32 v41, v105, v10
	s_waitcnt lgkmcnt(6)
	v_mul_f32_e32 v42, v107, v13
	v_mul_f32_e32 v43, v107, v12
	;; [unrolled: 3-line block ×3, first 2 shown]
	v_mul_f32_e32 v46, v103, v15
	v_mul_f32_e32 v47, v103, v14
	;; [unrolled: 1-line block ×4, first 2 shown]
	s_waitcnt lgkmcnt(4)
	v_mul_f32_e32 v50, v91, v21
	v_mul_f32_e32 v51, v91, v20
	;; [unrolled: 1-line block ×3, first 2 shown]
	s_waitcnt lgkmcnt(3)
	v_mul_f32_e32 v56, v97, v27
	v_mul_f32_e32 v57, v97, v26
	s_waitcnt lgkmcnt(1)
	v_mul_f32_e32 v58, v99, v39
	v_mul_f32_e32 v59, v99, v38
	v_mul_f32_e32 v52, v93, v25
	v_mul_f32_e32 v53, v93, v24
	v_mul_f32_e32 v54, v95, v23
	v_fmac_f32_e32 v40, v104, v10
	v_fma_f32 v10, v104, v11, -v41
	v_fmac_f32_e32 v42, v106, v12
	v_fma_f32 v11, v106, v13, -v43
	;; [unrolled: 2-line block ×6, first 2 shown]
	v_fma_f32 v21, v94, v23, -v55
	v_fmac_f32_e32 v56, v96, v26
	v_fma_f32 v16, v96, v27, -v57
	v_fmac_f32_e32 v58, v98, v38
	;; [unrolled: 2-line block ×4, first 2 shown]
	v_add_f32_e32 v19, v40, v42
	v_add_f32_e32 v22, v10, v11
	;; [unrolled: 1-line block ×3, first 2 shown]
	v_sub_f32_e32 v26, v40, v42
	v_add_f32_e32 v24, v30, v44
	v_add_f32_e32 v27, v44, v46
	;; [unrolled: 1-line block ×3, first 2 shown]
	v_sub_f32_e32 v41, v44, v46
	v_add_f32_e32 v44, v48, v50
	v_add_f32_e32 v49, v13, v17
	;; [unrolled: 1-line block ×4, first 2 shown]
	v_sub_f32_e32 v25, v10, v11
	v_sub_f32_e32 v38, v12, v15
	v_add_f32_e32 v39, v31, v12
	v_sub_f32_e32 v45, v13, v17
	s_waitcnt lgkmcnt(0)
	v_add_f32_e32 v47, v33, v13
	v_add_f32_e32 v53, v52, v54
	;; [unrolled: 1-line block ×3, first 2 shown]
	v_fma_f32 v12, -0.5, v19, v28
	v_fma_f32 v13, -0.5, v22, v29
	v_add_f32_e32 v20, v29, v10
	v_add_f32_e32 v43, v32, v48
	v_sub_f32_e32 v48, v48, v50
	v_add_f32_e32 v10, v18, v42
	v_fma_f32 v30, -0.5, v27, v30
	v_fmac_f32_e32 v31, -0.5, v40
	v_fma_f32 v18, -0.5, v44, v32
	v_fma_f32 v19, -0.5, v49, v33
	v_add_f32_e32 v60, v8, v56
	v_sub_f32_e32 v62, v16, v23
	v_add_f32_e32 v63, v9, v16
	v_sub_f32_e32 v56, v56, v58
	v_fma_f32 v8, -0.5, v61, v8
	v_fmac_f32_e32 v9, -0.5, v64
	v_add_f32_e32 v51, v34, v52
	v_sub_f32_e32 v55, v14, v21
	v_add_f32_e32 v57, v35, v14
	v_sub_f32_e32 v52, v52, v54
	v_add_f32_e32 v14, v24, v46
	v_fma_f32 v34, -0.5, v53, v34
	v_fmac_f32_e32 v35, -0.5, v59
	v_fmamk_f32 v24, v25, 0xbf5db3d7, v12
	v_fmac_f32_e32 v12, 0x3f5db3d7, v25
	v_fmamk_f32 v25, v26, 0x3f5db3d7, v13
	v_fmac_f32_e32 v13, 0xbf5db3d7, v26
	v_add_f32_e32 v11, v20, v11
	v_add_f32_e32 v15, v39, v15
	v_fmamk_f32 v26, v38, 0xbf5db3d7, v30
	v_fmamk_f32 v27, v41, 0x3f5db3d7, v31
	;; [unrolled: 1-line block ×4, first 2 shown]
	v_add_f32_e32 v16, v43, v50
	v_add_f32_e32 v17, v47, v17
	v_fmac_f32_e32 v30, 0x3f5db3d7, v38
	v_fmac_f32_e32 v31, 0xbf5db3d7, v41
	;; [unrolled: 1-line block ×4, first 2 shown]
	v_fmamk_f32 v38, v62, 0xbf5db3d7, v8
	v_fmac_f32_e32 v8, 0x3f5db3d7, v62
	v_fmamk_f32 v39, v56, 0x3f5db3d7, v9
	v_fmac_f32_e32 v9, 0xbf5db3d7, v56
	v_add_f32_e32 v20, v51, v54
	v_add_f32_e32 v21, v57, v21
	;; [unrolled: 1-line block ×4, first 2 shown]
	v_fmamk_f32 v32, v55, 0xbf5db3d7, v34
	v_fmac_f32_e32 v34, 0x3f5db3d7, v55
	v_fmamk_f32 v33, v52, 0x3f5db3d7, v35
	v_fmac_f32_e32 v35, 0xbf5db3d7, v52
	ds_write_b64 v157, v[24:25] offset:9000
	ds_write_b64 v157, v[12:13] offset:18000
	ds_write2_b64 v157, v[10:11], v[14:15] offset1:225
	ds_write2_b64 v164, v[26:27], v[28:29] offset0:6 offset1:231
	ds_write2_b64 v176, v[30:31], v[18:19] offset0:11 offset1:236
	;; [unrolled: 1-line block ×3, first 2 shown]
	ds_write_b64 v157, v[34:35] offset:23400
	ds_write_b64 v157, v[22:23] offset:7200
	ds_write2_b64 v162, v[32:33], v[38:39] offset0:8 offset1:233
	ds_write_b64 v157, v[8:9] offset:25200
	s_waitcnt lgkmcnt(0)
	s_barrier
	buffer_gl0_inv
	ds_read2_b64 v[8:11], v157 offset1:225
	ds_read2_b64 v[12:15], v163 offset0:2 offset1:227
	ds_read2_b64 v[16:19], v164 offset0:6 offset1:231
	;; [unrolled: 1-line block ×6, first 2 shown]
	ds_read_b64 v[42:43], v157 offset:25200
	v_mad_u64_u32 v[38:39], null, 0xffffb2a8, s0, v[36:37]
	v_add_nc_u32_e32 v39, s1, v39
	v_add_co_u32 v40, vcc_lo, v38, s4
	s_waitcnt lgkmcnt(7)
	v_mul_f32_e32 v44, v121, v9
	v_mul_f32_e32 v45, v121, v8
	s_waitcnt lgkmcnt(6)
	v_mul_f32_e32 v46, v137, v15
	v_mul_f32_e32 v47, v137, v14
	;; [unrolled: 3-line block ×5, first 2 shown]
	v_mul_f32_e32 v54, v123, v11
	v_mul_f32_e32 v55, v123, v10
	v_fmac_f32_e32 v44, v120, v8
	v_fma_f32 v45, v120, v9, -v45
	v_fmac_f32_e32 v46, v136, v14
	v_fma_f32 v47, v136, v15, -v47
	v_mul_f32_e32 v58, v149, v19
	v_mul_f32_e32 v59, v149, v18
	v_fmac_f32_e32 v48, v138, v16
	v_fma_f32 v49, v138, v17, -v49
	s_waitcnt lgkmcnt(2)
	v_mul_f32_e32 v56, v145, v29
	v_mul_f32_e32 v57, v145, v28
	v_fmac_f32_e32 v50, v140, v22
	v_fma_f32 v51, v140, v23, -v51
	s_waitcnt lgkmcnt(1)
	v_mul_f32_e32 v60, v143, v33
	v_mul_f32_e32 v61, v143, v32
	v_fmac_f32_e32 v52, v146, v24
	v_fma_f32 v53, v146, v25, -v53
	v_fmac_f32_e32 v54, v122, v10
	v_fma_f32 v55, v122, v11, -v55
	v_cvt_f64_f32_e32 v[8:9], v44
	v_cvt_f64_f32_e32 v[10:11], v45
	;; [unrolled: 1-line block ×4, first 2 shown]
	v_fmac_f32_e32 v58, v148, v18
	v_fma_f32 v59, v148, v19, -v59
	v_cvt_f64_f32_e32 v[18:19], v48
	v_cvt_f64_f32_e32 v[22:23], v49
	v_fmac_f32_e32 v56, v144, v28
	v_fma_f32 v57, v144, v29, -v57
	v_cvt_f64_f32_e32 v[24:25], v50
	v_cvt_f64_f32_e32 v[28:29], v51
	;; [unrolled: 4-line block ×3, first 2 shown]
	v_mul_f32_e32 v64, v133, v13
	v_mul_f32_e32 v65, v133, v12
	;; [unrolled: 1-line block ×5, first 2 shown]
	v_fmac_f32_e32 v64, v132, v12
	v_fma_f32 v53, v132, v13, -v65
	v_fmac_f32_e32 v68, v128, v20
	v_fma_f32 v65, v128, v21, -v69
	v_cvt_f64_f32_e32 v[12:13], v54
	v_cvt_f64_f32_e32 v[20:21], v55
	v_mul_f64 v[8:9], v[8:9], s[2:3]
	v_mul_f64 v[10:11], v[10:11], s[2:3]
	;; [unrolled: 1-line block ×8, first 2 shown]
	v_mul_f32_e32 v63, v135, v26
	v_mul_f64 v[32:33], v[32:33], s[2:3]
	v_mul_f64 v[44:45], v[44:45], s[2:3]
	v_mul_f32_e32 v66, v131, v31
	v_mul_f32_e32 v67, v131, v30
	v_fmac_f32_e32 v62, v134, v26
	v_fma_f32 v52, v134, v27, -v63
	v_cvt_f64_f32_e32 v[26:27], v56
	v_fmac_f32_e32 v66, v130, v30
	v_fma_f32 v63, v130, v31, -v67
	v_cvt_f64_f32_e32 v[30:31], v57
	v_mul_f32_e32 v70, v125, v35
	v_mul_f32_e32 v71, v125, v34
	s_waitcnt lgkmcnt(0)
	v_mul_f32_e32 v72, v127, v43
	v_mul_f32_e32 v73, v127, v42
	v_mul_f64 v[12:13], v[12:13], s[2:3]
	v_fmac_f32_e32 v70, v124, v34
	v_fma_f32 v67, v124, v35, -v71
	v_fmac_f32_e32 v72, v126, v42
	v_fma_f32 v69, v126, v43, -v73
	v_cvt_f64_f32_e32 v[34:35], v58
	v_cvt_f64_f32_e32 v[42:43], v59
	v_mul_f64 v[20:21], v[20:21], s[2:3]
	v_cvt_f64_f32_e32 v[46:47], v60
	v_cvt_f64_f32_e32 v[48:49], v61
	v_cvt_f32_f64_e32 v8, v[8:9]
	v_cvt_f32_f64_e32 v9, v[10:11]
	;; [unrolled: 1-line block ×10, first 2 shown]
	v_cvt_f64_f32_e32 v[50:51], v62
	v_cvt_f64_f32_e32 v[22:23], v52
	;; [unrolled: 1-line block ×6, first 2 shown]
	v_mul_f64 v[26:27], v[26:27], s[2:3]
	v_cvt_f64_f32_e32 v[52:53], v68
	v_cvt_f64_f32_e32 v[54:55], v65
	v_mul_f64 v[30:31], v[30:31], s[2:3]
	v_cvt_f64_f32_e32 v[56:57], v70
	v_cvt_f64_f32_e32 v[58:59], v67
	;; [unrolled: 1-line block ×4, first 2 shown]
	v_mul_f64 v[34:35], v[34:35], s[2:3]
	v_mul_f64 v[42:43], v[42:43], s[2:3]
	v_cvt_f32_f64_e32 v12, v[12:13]
	v_cvt_f32_f64_e32 v13, v[20:21]
	global_store_dwordx2 v[0:1], v[8:9], off
	global_store_dwordx2 v[2:3], v[10:11], off
	;; [unrolled: 1-line block ×5, first 2 shown]
	v_mul_f64 v[2:3], v[46:47], s[2:3]
	v_mul_f64 v[4:5], v[48:49], s[2:3]
	v_add_co_ci_u32_e32 v41, vcc_lo, s5, v39, vcc_lo
	v_mul_f64 v[8:9], v[50:51], s[2:3]
	v_mul_f64 v[10:11], v[22:23], s[2:3]
	v_add_co_u32 v0, vcc_lo, v40, s4
	v_add_co_ci_u32_e32 v1, vcc_lo, s5, v41, vcc_lo
	v_mul_f64 v[14:15], v[24:25], s[2:3]
	v_mul_f64 v[16:17], v[28:29], s[2:3]
	v_mul_f64 v[18:19], v[32:33], s[2:3]
	v_mul_f64 v[22:23], v[44:45], s[2:3]
	v_cvt_f32_f64_e32 v20, v[26:27]
	v_mul_f64 v[24:25], v[52:53], s[2:3]
	v_mul_f64 v[26:27], v[54:55], s[2:3]
	v_cvt_f32_f64_e32 v21, v[30:31]
	v_add_co_u32 v6, vcc_lo, v0, s4
	v_mul_f64 v[28:29], v[56:57], s[2:3]
	v_mul_f64 v[30:31], v[58:59], s[2:3]
	;; [unrolled: 1-line block ×4, first 2 shown]
	v_add_co_ci_u32_e32 v7, vcc_lo, s5, v1, vcc_lo
	v_add_co_u32 v44, vcc_lo, v6, s4
	global_store_dwordx2 v[38:39], v[12:13], off
	v_cvt_f32_f64_e32 v12, v[34:35]
	v_cvt_f32_f64_e32 v13, v[42:43]
	v_add_co_ci_u32_e32 v45, vcc_lo, s5, v7, vcc_lo
	v_cvt_f32_f64_e32 v2, v[2:3]
	v_cvt_f32_f64_e32 v3, v[4:5]
	;; [unrolled: 1-line block ×3, first 2 shown]
	v_mad_u64_u32 v[34:35], null, 0xffffb2a8, s0, v[44:45]
	v_cvt_f32_f64_e32 v5, v[10:11]
	v_cvt_f32_f64_e32 v8, v[14:15]
	v_cvt_f32_f64_e32 v9, v[16:17]
	v_cvt_f32_f64_e32 v10, v[18:19]
	v_cvt_f32_f64_e32 v11, v[22:23]
	v_cvt_f32_f64_e32 v14, v[24:25]
	v_add_nc_u32_e32 v35, s1, v35
	v_cvt_f32_f64_e32 v15, v[26:27]
	v_cvt_f32_f64_e32 v16, v[28:29]
	v_cvt_f32_f64_e32 v17, v[30:31]
	global_store_dwordx2 v[40:41], v[20:21], off
	v_cvt_f32_f64_e32 v18, v[32:33]
	v_cvt_f32_f64_e32 v19, v[36:37]
	v_add_co_u32 v20, vcc_lo, v34, s4
	v_add_co_ci_u32_e32 v21, vcc_lo, s5, v35, vcc_lo
	global_store_dwordx2 v[0:1], v[12:13], off
	v_add_co_u32 v0, vcc_lo, v20, s4
	v_add_co_ci_u32_e32 v1, vcc_lo, s5, v21, vcc_lo
	global_store_dwordx2 v[6:7], v[2:3], off
	;; [unrolled: 3-line block ×4, first 2 shown]
	global_store_dwordx2 v[20:21], v[10:11], off
	global_store_dwordx2 v[0:1], v[14:15], off
	;; [unrolled: 1-line block ×4, first 2 shown]
.LBB0_2:
	s_endpgm
	.section	.rodata,"a",@progbits
	.p2align	6, 0x0
	.amdhsa_kernel bluestein_single_back_len3375_dim1_sp_op_CI_CI
		.amdhsa_group_segment_fixed_size 27000
		.amdhsa_private_segment_fixed_size 0
		.amdhsa_kernarg_size 104
		.amdhsa_user_sgpr_count 6
		.amdhsa_user_sgpr_private_segment_buffer 1
		.amdhsa_user_sgpr_dispatch_ptr 0
		.amdhsa_user_sgpr_queue_ptr 0
		.amdhsa_user_sgpr_kernarg_segment_ptr 1
		.amdhsa_user_sgpr_dispatch_id 0
		.amdhsa_user_sgpr_flat_scratch_init 0
		.amdhsa_user_sgpr_private_segment_size 0
		.amdhsa_wavefront_size32 1
		.amdhsa_uses_dynamic_stack 0
		.amdhsa_system_sgpr_private_segment_wavefront_offset 0
		.amdhsa_system_sgpr_workgroup_id_x 1
		.amdhsa_system_sgpr_workgroup_id_y 0
		.amdhsa_system_sgpr_workgroup_id_z 0
		.amdhsa_system_sgpr_workgroup_info 0
		.amdhsa_system_vgpr_workitem_id 0
		.amdhsa_next_free_vgpr 245
		.amdhsa_next_free_sgpr 20
		.amdhsa_reserve_vcc 1
		.amdhsa_reserve_flat_scratch 0
		.amdhsa_float_round_mode_32 0
		.amdhsa_float_round_mode_16_64 0
		.amdhsa_float_denorm_mode_32 3
		.amdhsa_float_denorm_mode_16_64 3
		.amdhsa_dx10_clamp 1
		.amdhsa_ieee_mode 1
		.amdhsa_fp16_overflow 0
		.amdhsa_workgroup_processor_mode 1
		.amdhsa_memory_ordered 1
		.amdhsa_forward_progress 0
		.amdhsa_shared_vgpr_count 0
		.amdhsa_exception_fp_ieee_invalid_op 0
		.amdhsa_exception_fp_denorm_src 0
		.amdhsa_exception_fp_ieee_div_zero 0
		.amdhsa_exception_fp_ieee_overflow 0
		.amdhsa_exception_fp_ieee_underflow 0
		.amdhsa_exception_fp_ieee_inexact 0
		.amdhsa_exception_int_div_zero 0
	.end_amdhsa_kernel
	.text
.Lfunc_end0:
	.size	bluestein_single_back_len3375_dim1_sp_op_CI_CI, .Lfunc_end0-bluestein_single_back_len3375_dim1_sp_op_CI_CI
                                        ; -- End function
	.section	.AMDGPU.csdata,"",@progbits
; Kernel info:
; codeLenInByte = 18272
; NumSgprs: 22
; NumVgprs: 245
; ScratchSize: 0
; MemoryBound: 0
; FloatMode: 240
; IeeeMode: 1
; LDSByteSize: 27000 bytes/workgroup (compile time only)
; SGPRBlocks: 2
; VGPRBlocks: 30
; NumSGPRsForWavesPerEU: 22
; NumVGPRsForWavesPerEU: 245
; Occupancy: 4
; WaveLimiterHint : 1
; COMPUTE_PGM_RSRC2:SCRATCH_EN: 0
; COMPUTE_PGM_RSRC2:USER_SGPR: 6
; COMPUTE_PGM_RSRC2:TRAP_HANDLER: 0
; COMPUTE_PGM_RSRC2:TGID_X_EN: 1
; COMPUTE_PGM_RSRC2:TGID_Y_EN: 0
; COMPUTE_PGM_RSRC2:TGID_Z_EN: 0
; COMPUTE_PGM_RSRC2:TIDIG_COMP_CNT: 0
	.text
	.p2alignl 6, 3214868480
	.fill 48, 4, 3214868480
	.type	__hip_cuid_c6ab2fbdf8fdbafd,@object ; @__hip_cuid_c6ab2fbdf8fdbafd
	.section	.bss,"aw",@nobits
	.globl	__hip_cuid_c6ab2fbdf8fdbafd
__hip_cuid_c6ab2fbdf8fdbafd:
	.byte	0                               ; 0x0
	.size	__hip_cuid_c6ab2fbdf8fdbafd, 1

	.ident	"AMD clang version 19.0.0git (https://github.com/RadeonOpenCompute/llvm-project roc-6.4.0 25133 c7fe45cf4b819c5991fe208aaa96edf142730f1d)"
	.section	".note.GNU-stack","",@progbits
	.addrsig
	.addrsig_sym __hip_cuid_c6ab2fbdf8fdbafd
	.amdgpu_metadata
---
amdhsa.kernels:
  - .args:
      - .actual_access:  read_only
        .address_space:  global
        .offset:         0
        .size:           8
        .value_kind:     global_buffer
      - .actual_access:  read_only
        .address_space:  global
        .offset:         8
        .size:           8
        .value_kind:     global_buffer
      - .actual_access:  read_only
        .address_space:  global
        .offset:         16
        .size:           8
        .value_kind:     global_buffer
      - .actual_access:  read_only
        .address_space:  global
        .offset:         24
        .size:           8
        .value_kind:     global_buffer
      - .actual_access:  read_only
        .address_space:  global
        .offset:         32
        .size:           8
        .value_kind:     global_buffer
      - .offset:         40
        .size:           8
        .value_kind:     by_value
      - .address_space:  global
        .offset:         48
        .size:           8
        .value_kind:     global_buffer
      - .address_space:  global
        .offset:         56
        .size:           8
        .value_kind:     global_buffer
      - .address_space:  global
        .offset:         64
        .size:           8
        .value_kind:     global_buffer
      - .address_space:  global
        .offset:         72
        .size:           8
        .value_kind:     global_buffer
      - .offset:         80
        .size:           4
        .value_kind:     by_value
      - .address_space:  global
        .offset:         88
        .size:           8
        .value_kind:     global_buffer
      - .address_space:  global
        .offset:         96
        .size:           8
        .value_kind:     global_buffer
    .group_segment_fixed_size: 27000
    .kernarg_segment_align: 8
    .kernarg_segment_size: 104
    .language:       OpenCL C
    .language_version:
      - 2
      - 0
    .max_flat_workgroup_size: 225
    .name:           bluestein_single_back_len3375_dim1_sp_op_CI_CI
    .private_segment_fixed_size: 0
    .sgpr_count:     22
    .sgpr_spill_count: 0
    .symbol:         bluestein_single_back_len3375_dim1_sp_op_CI_CI.kd
    .uniform_work_group_size: 1
    .uses_dynamic_stack: false
    .vgpr_count:     245
    .vgpr_spill_count: 0
    .wavefront_size: 32
    .workgroup_processor_mode: 1
amdhsa.target:   amdgcn-amd-amdhsa--gfx1030
amdhsa.version:
  - 1
  - 2
...

	.end_amdgpu_metadata
